;; amdgpu-corpus repo=ROCm/rocFFT kind=compiled arch=gfx1030 opt=O3
	.text
	.amdgcn_target "amdgcn-amd-amdhsa--gfx1030"
	.amdhsa_code_object_version 6
	.protected	fft_rtc_fwd_len3750_factors_3_5_5_10_5_wgs_125_tpt_125_halfLds_sp_op_CI_CI_unitstride_sbrr_R2C_dirReg ; -- Begin function fft_rtc_fwd_len3750_factors_3_5_5_10_5_wgs_125_tpt_125_halfLds_sp_op_CI_CI_unitstride_sbrr_R2C_dirReg
	.globl	fft_rtc_fwd_len3750_factors_3_5_5_10_5_wgs_125_tpt_125_halfLds_sp_op_CI_CI_unitstride_sbrr_R2C_dirReg
	.p2align	8
	.type	fft_rtc_fwd_len3750_factors_3_5_5_10_5_wgs_125_tpt_125_halfLds_sp_op_CI_CI_unitstride_sbrr_R2C_dirReg,@function
fft_rtc_fwd_len3750_factors_3_5_5_10_5_wgs_125_tpt_125_halfLds_sp_op_CI_CI_unitstride_sbrr_R2C_dirReg: ; @fft_rtc_fwd_len3750_factors_3_5_5_10_5_wgs_125_tpt_125_halfLds_sp_op_CI_CI_unitstride_sbrr_R2C_dirReg
; %bb.0:
	s_clause 0x2
	s_load_dwordx4 s[12:15], s[4:5], 0x0
	s_load_dwordx4 s[8:11], s[4:5], 0x58
	;; [unrolled: 1-line block ×3, first 2 shown]
	v_mul_u32_u24_e32 v1, 0x20d, v0
	v_mov_b32_e32 v3, 0
	v_add_nc_u32_sdwa v5, s6, v1 dst_sel:DWORD dst_unused:UNUSED_PAD src0_sel:DWORD src1_sel:WORD_1
	v_mov_b32_e32 v1, 0
	v_mov_b32_e32 v6, v3
	v_mov_b32_e32 v2, 0
	s_waitcnt lgkmcnt(0)
	v_cmp_lt_u64_e64 s0, s[14:15], 2
	s_and_b32 vcc_lo, exec_lo, s0
	s_cbranch_vccnz .LBB0_8
; %bb.1:
	s_load_dwordx2 s[0:1], s[4:5], 0x10
	v_mov_b32_e32 v1, 0
	v_mov_b32_e32 v2, 0
	s_add_u32 s2, s18, 8
	s_addc_u32 s3, s19, 0
	s_add_u32 s6, s16, 8
	s_addc_u32 s7, s17, 0
	v_mov_b32_e32 v55, v2
	v_mov_b32_e32 v54, v1
	s_mov_b64 s[22:23], 1
	s_waitcnt lgkmcnt(0)
	s_add_u32 s20, s0, 8
	s_addc_u32 s21, s1, 0
.LBB0_2:                                ; =>This Inner Loop Header: Depth=1
	s_load_dwordx2 s[24:25], s[20:21], 0x0
                                        ; implicit-def: $vgpr58_vgpr59
	s_mov_b32 s0, exec_lo
	s_waitcnt lgkmcnt(0)
	v_or_b32_e32 v4, s25, v6
	v_cmpx_ne_u64_e32 0, v[3:4]
	s_xor_b32 s1, exec_lo, s0
	s_cbranch_execz .LBB0_4
; %bb.3:                                ;   in Loop: Header=BB0_2 Depth=1
	v_cvt_f32_u32_e32 v4, s24
	v_cvt_f32_u32_e32 v7, s25
	s_sub_u32 s0, 0, s24
	s_subb_u32 s26, 0, s25
	v_fmac_f32_e32 v4, 0x4f800000, v7
	v_rcp_f32_e32 v4, v4
	v_mul_f32_e32 v4, 0x5f7ffffc, v4
	v_mul_f32_e32 v7, 0x2f800000, v4
	v_trunc_f32_e32 v7, v7
	v_fmac_f32_e32 v4, 0xcf800000, v7
	v_cvt_u32_f32_e32 v7, v7
	v_cvt_u32_f32_e32 v4, v4
	v_mul_lo_u32 v8, s0, v7
	v_mul_hi_u32 v9, s0, v4
	v_mul_lo_u32 v10, s26, v4
	v_add_nc_u32_e32 v8, v9, v8
	v_mul_lo_u32 v9, s0, v4
	v_add_nc_u32_e32 v8, v8, v10
	v_mul_hi_u32 v10, v4, v9
	v_mul_lo_u32 v11, v4, v8
	v_mul_hi_u32 v12, v4, v8
	v_mul_hi_u32 v13, v7, v9
	v_mul_lo_u32 v9, v7, v9
	v_mul_hi_u32 v14, v7, v8
	v_mul_lo_u32 v8, v7, v8
	v_add_co_u32 v10, vcc_lo, v10, v11
	v_add_co_ci_u32_e32 v11, vcc_lo, 0, v12, vcc_lo
	v_add_co_u32 v9, vcc_lo, v10, v9
	v_add_co_ci_u32_e32 v9, vcc_lo, v11, v13, vcc_lo
	v_add_co_ci_u32_e32 v10, vcc_lo, 0, v14, vcc_lo
	v_add_co_u32 v8, vcc_lo, v9, v8
	v_add_co_ci_u32_e32 v9, vcc_lo, 0, v10, vcc_lo
	v_add_co_u32 v4, vcc_lo, v4, v8
	v_add_co_ci_u32_e32 v7, vcc_lo, v7, v9, vcc_lo
	v_mul_hi_u32 v8, s0, v4
	v_mul_lo_u32 v10, s26, v4
	v_mul_lo_u32 v9, s0, v7
	v_add_nc_u32_e32 v8, v8, v9
	v_mul_lo_u32 v9, s0, v4
	v_add_nc_u32_e32 v8, v8, v10
	v_mul_hi_u32 v10, v4, v9
	v_mul_lo_u32 v11, v4, v8
	v_mul_hi_u32 v12, v4, v8
	v_mul_hi_u32 v13, v7, v9
	v_mul_lo_u32 v9, v7, v9
	v_mul_hi_u32 v14, v7, v8
	v_mul_lo_u32 v8, v7, v8
	v_add_co_u32 v10, vcc_lo, v10, v11
	v_add_co_ci_u32_e32 v11, vcc_lo, 0, v12, vcc_lo
	v_add_co_u32 v9, vcc_lo, v10, v9
	v_add_co_ci_u32_e32 v9, vcc_lo, v11, v13, vcc_lo
	v_add_co_ci_u32_e32 v10, vcc_lo, 0, v14, vcc_lo
	v_add_co_u32 v8, vcc_lo, v9, v8
	v_add_co_ci_u32_e32 v9, vcc_lo, 0, v10, vcc_lo
	v_add_co_u32 v4, vcc_lo, v4, v8
	v_add_co_ci_u32_e32 v11, vcc_lo, v7, v9, vcc_lo
	v_mul_hi_u32 v13, v5, v4
	v_mad_u64_u32 v[9:10], null, v6, v4, 0
	v_mad_u64_u32 v[7:8], null, v5, v11, 0
	;; [unrolled: 1-line block ×3, first 2 shown]
	v_add_co_u32 v4, vcc_lo, v13, v7
	v_add_co_ci_u32_e32 v7, vcc_lo, 0, v8, vcc_lo
	v_add_co_u32 v4, vcc_lo, v4, v9
	v_add_co_ci_u32_e32 v4, vcc_lo, v7, v10, vcc_lo
	v_add_co_ci_u32_e32 v7, vcc_lo, 0, v12, vcc_lo
	v_add_co_u32 v4, vcc_lo, v4, v11
	v_add_co_ci_u32_e32 v9, vcc_lo, 0, v7, vcc_lo
	v_mul_lo_u32 v10, s25, v4
	v_mad_u64_u32 v[7:8], null, s24, v4, 0
	v_mul_lo_u32 v11, s24, v9
	v_sub_co_u32 v7, vcc_lo, v5, v7
	v_add3_u32 v8, v8, v11, v10
	v_sub_nc_u32_e32 v10, v6, v8
	v_subrev_co_ci_u32_e64 v10, s0, s25, v10, vcc_lo
	v_add_co_u32 v11, s0, v4, 2
	v_add_co_ci_u32_e64 v12, s0, 0, v9, s0
	v_sub_co_u32 v13, s0, v7, s24
	v_sub_co_ci_u32_e32 v8, vcc_lo, v6, v8, vcc_lo
	v_subrev_co_ci_u32_e64 v10, s0, 0, v10, s0
	v_cmp_le_u32_e32 vcc_lo, s24, v13
	v_cmp_eq_u32_e64 s0, s25, v8
	v_cndmask_b32_e64 v13, 0, -1, vcc_lo
	v_cmp_le_u32_e32 vcc_lo, s25, v10
	v_cndmask_b32_e64 v14, 0, -1, vcc_lo
	v_cmp_le_u32_e32 vcc_lo, s24, v7
	;; [unrolled: 2-line block ×3, first 2 shown]
	v_cndmask_b32_e64 v15, 0, -1, vcc_lo
	v_cmp_eq_u32_e32 vcc_lo, s25, v10
	v_cndmask_b32_e64 v7, v15, v7, s0
	v_cndmask_b32_e32 v10, v14, v13, vcc_lo
	v_add_co_u32 v13, vcc_lo, v4, 1
	v_add_co_ci_u32_e32 v14, vcc_lo, 0, v9, vcc_lo
	v_cmp_ne_u32_e32 vcc_lo, 0, v10
	v_cndmask_b32_e32 v8, v14, v12, vcc_lo
	v_cndmask_b32_e32 v10, v13, v11, vcc_lo
	v_cmp_ne_u32_e32 vcc_lo, 0, v7
	v_cndmask_b32_e32 v59, v9, v8, vcc_lo
	v_cndmask_b32_e32 v58, v4, v10, vcc_lo
.LBB0_4:                                ;   in Loop: Header=BB0_2 Depth=1
	s_andn2_saveexec_b32 s0, s1
	s_cbranch_execz .LBB0_6
; %bb.5:                                ;   in Loop: Header=BB0_2 Depth=1
	v_cvt_f32_u32_e32 v4, s24
	s_sub_i32 s1, 0, s24
	v_mov_b32_e32 v59, v3
	v_rcp_iflag_f32_e32 v4, v4
	v_mul_f32_e32 v4, 0x4f7ffffe, v4
	v_cvt_u32_f32_e32 v4, v4
	v_mul_lo_u32 v7, s1, v4
	v_mul_hi_u32 v7, v4, v7
	v_add_nc_u32_e32 v4, v4, v7
	v_mul_hi_u32 v4, v5, v4
	v_mul_lo_u32 v7, v4, s24
	v_add_nc_u32_e32 v8, 1, v4
	v_sub_nc_u32_e32 v7, v5, v7
	v_subrev_nc_u32_e32 v9, s24, v7
	v_cmp_le_u32_e32 vcc_lo, s24, v7
	v_cndmask_b32_e32 v7, v7, v9, vcc_lo
	v_cndmask_b32_e32 v4, v4, v8, vcc_lo
	v_cmp_le_u32_e32 vcc_lo, s24, v7
	v_add_nc_u32_e32 v8, 1, v4
	v_cndmask_b32_e32 v58, v4, v8, vcc_lo
.LBB0_6:                                ;   in Loop: Header=BB0_2 Depth=1
	s_or_b32 exec_lo, exec_lo, s0
	v_mul_lo_u32 v4, v59, s24
	v_mul_lo_u32 v9, v58, s25
	s_load_dwordx2 s[0:1], s[6:7], 0x0
	v_mad_u64_u32 v[7:8], null, v58, s24, 0
	s_load_dwordx2 s[24:25], s[2:3], 0x0
	s_add_u32 s22, s22, 1
	s_addc_u32 s23, s23, 0
	s_add_u32 s2, s2, 8
	s_addc_u32 s3, s3, 0
	s_add_u32 s6, s6, 8
	v_add3_u32 v4, v8, v9, v4
	v_sub_co_u32 v5, vcc_lo, v5, v7
	s_addc_u32 s7, s7, 0
	s_add_u32 s20, s20, 8
	v_sub_co_ci_u32_e32 v4, vcc_lo, v6, v4, vcc_lo
	s_addc_u32 s21, s21, 0
	s_waitcnt lgkmcnt(0)
	v_mul_lo_u32 v6, s0, v4
	v_mul_lo_u32 v7, s1, v5
	v_mad_u64_u32 v[1:2], null, s0, v5, v[1:2]
	v_mul_lo_u32 v4, s24, v4
	v_mul_lo_u32 v8, s25, v5
	v_mad_u64_u32 v[54:55], null, s24, v5, v[54:55]
	v_cmp_ge_u64_e64 s0, s[22:23], s[14:15]
	v_add3_u32 v2, v7, v2, v6
	v_add3_u32 v55, v8, v55, v4
	s_and_b32 vcc_lo, exec_lo, s0
	s_cbranch_vccnz .LBB0_9
; %bb.7:                                ;   in Loop: Header=BB0_2 Depth=1
	v_mov_b32_e32 v5, v58
	v_mov_b32_e32 v6, v59
	s_branch .LBB0_2
.LBB0_8:
	v_mov_b32_e32 v55, v2
	v_mov_b32_e32 v59, v6
	;; [unrolled: 1-line block ×4, first 2 shown]
.LBB0_9:
	s_load_dwordx2 s[0:1], s[4:5], 0x28
	v_mul_hi_u32 v3, 0x20c49bb, v0
	s_lshl_b64 s[4:5], s[14:15], 3
                                        ; implicit-def: $vgpr52
                                        ; implicit-def: $vgpr56
                                        ; implicit-def: $vgpr65
                                        ; implicit-def: $vgpr64
                                        ; implicit-def: $vgpr63
                                        ; implicit-def: $vgpr62
                                        ; implicit-def: $vgpr61
                                        ; implicit-def: $vgpr60
	s_add_u32 s2, s18, s4
	s_addc_u32 s3, s19, s5
	s_waitcnt lgkmcnt(0)
	v_cmp_gt_u64_e32 vcc_lo, s[0:1], v[58:59]
	v_cmp_le_u64_e64 s0, s[0:1], v[58:59]
	s_and_saveexec_b32 s1, s0
	s_xor_b32 s0, exec_lo, s1
; %bb.10:
	v_mul_u32_u24_e32 v1, 0x7d, v3
                                        ; implicit-def: $vgpr3
	v_sub_nc_u32_e32 v52, v0, v1
                                        ; implicit-def: $vgpr0
                                        ; implicit-def: $vgpr1_vgpr2
	v_add_nc_u32_e32 v56, 0x7d, v52
	v_add_nc_u32_e32 v65, 0xfa, v52
	;; [unrolled: 1-line block ×7, first 2 shown]
; %bb.11:
	s_andn2_saveexec_b32 s1, s0
	s_cbranch_execz .LBB0_13
; %bb.12:
	s_add_u32 s4, s16, s4
	s_addc_u32 s5, s17, s5
	v_lshlrev_b64 v[1:2], 3, v[1:2]
	s_load_dwordx2 s[4:5], s[4:5], 0x0
	s_waitcnt lgkmcnt(0)
	v_mul_lo_u32 v6, s5, v58
	v_mul_lo_u32 v7, s4, v59
	v_mad_u64_u32 v[4:5], null, s4, v58, 0
	v_add3_u32 v5, v5, v7, v6
	v_mul_u32_u24_e32 v6, 0x7d, v3
	v_lshlrev_b64 v[3:4], 3, v[4:5]
	v_sub_nc_u32_e32 v52, v0, v6
	v_lshlrev_b32_e32 v53, 3, v52
	v_add_co_u32 v0, s0, s8, v3
	v_add_co_ci_u32_e64 v3, s0, s9, v4, s0
	v_add_nc_u32_e32 v56, 0x7d, v52
	v_add_co_u32 v0, s0, v0, v1
	v_add_co_ci_u32_e64 v1, s0, v3, v2, s0
	v_add_nc_u32_e32 v65, 0xfa, v52
	;; [unrolled: 3-line block ×3, first 2 shown]
	v_add_co_u32 v2, s0, 0x800, v0
	v_add_co_ci_u32_e64 v3, s0, 0, v1, s0
	v_add_co_u32 v4, s0, 0x1000, v0
	v_add_co_ci_u32_e64 v5, s0, 0, v1, s0
	;; [unrolled: 2-line block ×13, first 2 shown]
	s_clause 0x3
	global_load_dwordx2 v[6:7], v[0:1], off
	global_load_dwordx2 v[20:21], v[2:3], off offset:952
	global_load_dwordx2 v[22:23], v[0:1], off offset:2000
	;; [unrolled: 1-line block ×3, first 2 shown]
	v_add_co_u32 v0, s0, 0x7000, v0
	v_add_co_ci_u32_e64 v1, s0, 0, v1, s0
	s_clause 0x19
	global_load_dwordx2 v[2:3], v[2:3], off offset:1952
	global_load_dwordx2 v[34:35], v[4:5], off offset:904
	;; [unrolled: 1-line block ×26, first 2 shown]
	v_add_nc_u32_e32 v64, 0x177, v52
	v_add_nc_u32_e32 v63, 0x1f4, v52
	;; [unrolled: 1-line block ×19, first 2 shown]
	s_waitcnt vmcnt(27)
	ds_write2_b64 v57, v[22:23], v[20:21] offset0:122 offset1:247
	s_waitcnt vmcnt(24)
	ds_write2_b64 v74, v[2:3], v[34:35] offset0:116 offset1:241
	;; [unrolled: 2-line block ×6, first 2 shown]
	ds_write2_b64 v53, v[6:7], v[24:25] offset1:125
	s_waitcnt vmcnt(14)
	ds_write2_b64 v79, v[14:15], v[46:47] offset0:86 offset1:211
	s_waitcnt vmcnt(12)
	ds_write2_b64 v80, v[16:17], v[48:49] offset0:80 offset1:205
	;; [unrolled: 2-line block ×8, first 2 shown]
.LBB0_13:
	s_or_b32 exec_lo, exec_lo, s1
	v_lshlrev_b32_e32 v53, 3, v52
	s_load_dwordx2 s[2:3], s[2:3], 0x0
	s_waitcnt lgkmcnt(0)
	s_barrier
	buffer_gl0_inv
	v_add_nc_u32_e32 v74, 0, v53
	v_cmp_gt_u32_e64 s0, 0x4b, v52
	s_add_u32 s1, s12, 0x7518
	s_addc_u32 s4, s13, 0
	s_mov_b32 s5, exec_lo
	v_add_nc_u32_e32 v86, 0x2400, v74
	v_add_nc_u32_e32 v84, 0x4c00, v74
	;; [unrolled: 1-line block ×4, first 2 shown]
	ds_read2_b64 v[0:3], v74 offset1:125
	ds_read2_b64 v[4:7], v86 offset0:98 offset1:223
	ds_read2_b64 v[8:11], v84 offset0:68 offset1:193
	v_add_nc_u32_e32 v85, 0x5400, v74
	ds_read2_b64 v[12:15], v12 offset0:122 offset1:247
	ds_read2_b64 v[16:19], v66 offset0:92 offset1:217
	;; [unrolled: 1-line block ×3, first 2 shown]
	v_add_nc_u32_e32 v67, 0xc00, v74
	v_add_nc_u32_e32 v88, 0x3400, v74
	v_add_nc_u32_e32 v87, 0x5c00, v74
	ds_read2_b64 v[24:27], v67 offset0:116 offset1:241
	ds_read2_b64 v[28:31], v88 offset0:86 offset1:211
	;; [unrolled: 1-line block ×3, first 2 shown]
	v_add_nc_u32_e32 v90, 0x3c00, v74
	v_add_nc_u32_e32 v89, 0x6400, v74
	;; [unrolled: 1-line block ×4, first 2 shown]
	s_waitcnt lgkmcnt(7)
	v_add_f32_e32 v36, v0, v4
	s_waitcnt lgkmcnt(6)
	v_add_f32_e32 v48, v4, v8
	v_sub_f32_e32 v51, v4, v8
	v_add_f32_e32 v4, v2, v6
	v_sub_f32_e32 v49, v5, v9
	v_add_f32_e32 v37, v1, v5
	v_add_f32_e32 v50, v5, v9
	;; [unrolled: 1-line block ×4, first 2 shown]
	s_waitcnt lgkmcnt(4)
	v_add_f32_e32 v4, v14, v18
	v_add_f32_e32 v57, v6, v10
	v_sub_f32_e32 v68, v7, v11
	v_add_f32_e32 v69, v7, v11
	v_sub_f32_e32 v70, v6, v10
	v_add_f32_e32 v6, v12, v16
	v_add_f32_e32 v7, v13, v17
	;; [unrolled: 1-line block ×4, first 2 shown]
	s_waitcnt lgkmcnt(3)
	v_add_f32_e32 v46, v4, v22
	v_add_nc_u32_e32 v4, 0x1400, v74
	v_add_f32_e32 v71, v16, v20
	v_sub_f32_e32 v72, v17, v21
	v_add_f32_e32 v73, v17, v21
	v_add_f32_e32 v40, v36, v8
	;; [unrolled: 1-line block ×3, first 2 shown]
	v_sub_f32_e32 v75, v16, v20
	v_add_f32_e32 v76, v18, v22
	v_sub_f32_e32 v77, v19, v23
	v_add_f32_e32 v78, v19, v23
	;; [unrolled: 2-line block ×3, first 2 shown]
	v_add_f32_e32 v45, v7, v21
	v_add_f32_e32 v47, v5, v23
	s_waitcnt lgkmcnt(1)
	v_add_f32_e32 v20, v24, v28
	v_add_f32_e32 v21, v25, v29
	ds_read2_b64 v[4:7], v4 offset0:110 offset1:235
	ds_read2_b64 v[8:11], v90 offset0:80 offset1:205
	;; [unrolled: 1-line block ×3, first 2 shown]
	v_add_nc_u32_e32 v22, 0x1c00, v74
	s_waitcnt lgkmcnt(3)
	v_add_f32_e32 v80, v28, v32
	v_sub_f32_e32 v81, v29, v33
	v_add_f32_e32 v82, v29, v33
	v_sub_f32_e32 v83, v28, v32
	v_add_f32_e32 v93, v26, v30
	v_add_f32_e32 v94, v30, v34
	v_sub_f32_e32 v95, v31, v35
	v_add_f32_e32 v96, v27, v31
	v_add_f32_e32 v97, v31, v35
	v_sub_f32_e32 v98, v30, v34
	v_add_f32_e32 v32, v20, v32
	v_add_f32_e32 v33, v21, v33
	ds_read2_b64 v[20:23], v22 offset0:104 offset1:229
	ds_read2_b64 v[28:31], v92 offset0:74 offset1:199
	;; [unrolled: 1-line block ×3, first 2 shown]
	v_add_f32_e32 v34, v93, v34
	v_add_f32_e32 v35, v96, v35
	v_fma_f32 v0, -0.5, v48, v0
	v_fma_f32 v1, -0.5, v50, v1
	s_waitcnt lgkmcnt(4)
	v_add_f32_e32 v93, v4, v8
	s_waitcnt lgkmcnt(3)
	v_add_f32_e32 v96, v8, v16
	v_add_f32_e32 v100, v5, v9
	v_sub_f32_e32 v102, v8, v16
	v_add_f32_e32 v103, v6, v10
	v_add_f32_e32 v106, v7, v11
	;; [unrolled: 1-line block ×3, first 2 shown]
	v_sub_f32_e32 v99, v9, v17
	v_add_f32_e32 v101, v9, v17
	v_add_f32_e32 v104, v10, v18
	v_sub_f32_e32 v105, v11, v19
	v_add_f32_e32 v107, v11, v19
	v_sub_f32_e32 v108, v10, v18
	v_add_f32_e32 v9, v100, v17
	s_waitcnt lgkmcnt(1)
	v_add_f32_e32 v16, v20, v28
	v_add_f32_e32 v10, v103, v18
	;; [unrolled: 1-line block ×3, first 2 shown]
	s_waitcnt lgkmcnt(0)
	v_add_f32_e32 v93, v28, v36
	v_sub_f32_e32 v100, v29, v37
	v_add_f32_e32 v17, v21, v29
	v_add_f32_e32 v103, v29, v37
	v_sub_f32_e32 v106, v28, v36
	v_add_f32_e32 v16, v16, v36
	v_fmamk_f32 v28, v49, 0x3f5db3d7, v0
	v_fmamk_f32 v29, v51, 0xbf5db3d7, v1
	v_mad_u32_u24 v36, v52, 24, 0
	v_fmac_f32_e32 v0, 0xbf5db3d7, v49
	v_fmac_f32_e32 v1, 0x3f5db3d7, v51
	v_fma_f32 v2, -0.5, v57, v2
	v_fmac_f32_e32 v3, -0.5, v69
	s_barrier
	buffer_gl0_inv
	ds_write2_b64 v36, v[40:41], v[28:29] offset1:1
	ds_write_b64 v36, v[0:1] offset:16
	v_fma_f32 v0, -0.5, v71, v12
	v_fma_f32 v1, -0.5, v73, v13
	v_add_f32_e32 v18, v22, v30
	v_add_f32_e32 v109, v30, v38
	v_sub_f32_e32 v110, v31, v39
	v_add_f32_e32 v19, v23, v31
	v_add_f32_e32 v111, v31, v39
	v_sub_f32_e32 v112, v30, v38
	v_add_f32_e32 v17, v17, v37
	v_fmamk_f32 v30, v68, 0x3f5db3d7, v2
	v_fmamk_f32 v31, v70, 0xbf5db3d7, v3
	v_mad_i32_i24 v37, v56, 24, 0
	v_fmac_f32_e32 v2, 0xbf5db3d7, v68
	v_fmac_f32_e32 v3, 0x3f5db3d7, v70
	v_fmamk_f32 v12, v72, 0x3f5db3d7, v0
	v_fmamk_f32 v13, v75, 0xbf5db3d7, v1
	v_mad_i32_i24 v28, v65, 24, 0
	v_fmac_f32_e32 v0, 0xbf5db3d7, v72
	v_fmac_f32_e32 v1, 0x3f5db3d7, v75
	ds_write2_b64 v37, v[42:43], v[30:31] offset1:1
	v_fma_f32 v14, -0.5, v76, v14
	v_fmac_f32_e32 v15, -0.5, v78
	ds_write_b64 v37, v[2:3] offset:16
	ds_write2_b64 v28, v[44:45], v[12:13] offset1:1
	ds_write_b64 v28, v[0:1] offset:16
	v_fma_f32 v2, -0.5, v80, v24
	v_fma_f32 v3, -0.5, v82, v25
	v_fmamk_f32 v0, v77, 0x3f5db3d7, v14
	v_fmamk_f32 v1, v79, 0xbf5db3d7, v15
	v_mad_i32_i24 v24, v64, 24, 0
	v_fmamk_f32 v12, v81, 0x3f5db3d7, v2
	v_fmamk_f32 v13, v83, 0xbf5db3d7, v3
	v_mad_i32_i24 v25, v63, 24, 0
	v_fma_f32 v4, -0.5, v96, v4
	v_fma_f32 v5, -0.5, v101, v5
	v_fmac_f32_e32 v14, 0xbf5db3d7, v77
	v_fmac_f32_e32 v15, 0x3f5db3d7, v79
	v_fma_f32 v26, -0.5, v94, v26
	v_fmac_f32_e32 v27, -0.5, v97
	ds_write2_b64 v24, v[46:47], v[0:1] offset1:1
	ds_write_b64 v24, v[14:15] offset:16
	ds_write2_b64 v25, v[32:33], v[12:13] offset1:1
	v_fmac_f32_e32 v2, 0xbf5db3d7, v81
	v_fmac_f32_e32 v3, 0x3f5db3d7, v83
	v_fmamk_f32 v12, v99, 0x3f5db3d7, v4
	v_fmamk_f32 v13, v102, 0xbf5db3d7, v5
	v_mad_i32_i24 v75, v61, 24, 0
	v_and_b32_e32 v68, 0xff, v56
	v_fmamk_f32 v0, v95, 0x3f5db3d7, v26
	v_fmamk_f32 v1, v98, 0xbf5db3d7, v27
	v_mad_i32_i24 v76, v62, 24, 0
	v_fmac_f32_e32 v26, 0xbf5db3d7, v95
	v_fmac_f32_e32 v27, 0x3f5db3d7, v98
	ds_write_b64 v25, v[2:3] offset:16
	ds_write2_b64 v76, v[34:35], v[0:1] offset1:1
	ds_write_b64 v76, v[26:27] offset:16
	ds_write2_b64 v75, v[8:9], v[12:13] offset1:1
	v_mul_lo_u16 v13, 0xab, v68
	v_mov_b32_e32 v28, 0xaaab
	v_fmac_f32_e32 v4, 0xbf5db3d7, v99
	v_fmac_f32_e32 v5, 0x3f5db3d7, v102
	v_fma_f32 v22, -0.5, v109, v22
	v_lshrrev_b16 v109, 9, v13
	v_mul_u32_u24_sdwa v15, v65, v28 dst_sel:DWORD dst_unused:UNUSED_PAD src0_sel:WORD_0 src1_sel:DWORD
	v_fma_f32 v6, -0.5, v104, v6
	v_fmac_f32_e32 v7, -0.5, v107
	ds_write_b64 v75, v[4:5] offset:16
	v_mul_lo_u16 v4, v109, 3
	v_lshrrev_b32_e32 v107, 17, v15
	v_fmamk_f32 v0, v105, 0x3f5db3d7, v6
	v_fma_f32 v2, -0.5, v93, v20
	v_fmamk_f32 v1, v108, 0xbf5db3d7, v7
	v_fma_f32 v3, -0.5, v103, v21
	v_add_nc_u32_e32 v14, 0x5208, v36
	v_fmamk_f32 v12, v110, 0x3f5db3d7, v22
	v_fmac_f32_e32 v22, 0xbf5db3d7, v110
	v_sub_nc_u16 v110, v56, v4
	v_mul_lo_u16 v4, v107, 3
	v_fmac_f32_e32 v23, -0.5, v111
	v_fmac_f32_e32 v6, 0xbf5db3d7, v105
	v_fmac_f32_e32 v7, 0x3f5db3d7, v108
	v_fmamk_f32 v8, v100, 0x3f5db3d7, v2
	v_fmamk_f32 v9, v106, 0xbf5db3d7, v3
	ds_write2_b64 v14, v[10:11], v[0:1] offset1:1
	v_add_nc_u32_e32 v0, 0x5dc0, v36
	v_mov_b32_e32 v69, 5
	v_fmac_f32_e32 v2, 0xbf5db3d7, v100
	v_fmac_f32_e32 v3, 0x3f5db3d7, v106
	v_sub_nc_u16 v108, v65, v4
	v_add_f32_e32 v18, v18, v38
	v_add_f32_e32 v19, v19, v39
	v_fmamk_f32 v13, v112, 0xbf5db3d7, v23
	v_mad_i32_i24 v1, v60, 24, 0
	v_fmac_f32_e32 v23, 0x3f5db3d7, v112
	ds_write_b64 v36, v[6:7] offset:21016
	ds_write2_b64 v0, v[16:17], v[8:9] offset1:1
	ds_write_b64 v36, v[2:3] offset:24016
	ds_write2_b64 v1, v[18:19], v[12:13] offset1:1
	v_lshlrev_b32_sdwa v8, v69, v110 dst_sel:DWORD dst_unused:UNUSED_PAD src0_sel:DWORD src1_sel:BYTE_0
	v_mul_u32_u24_sdwa v10, v64, v28 dst_sel:DWORD dst_unused:UNUSED_PAD src0_sel:WORD_0 src1_sel:DWORD
	v_lshlrev_b32_sdwa v9, v69, v108 dst_sel:DWORD dst_unused:UNUSED_PAD src0_sel:DWORD src1_sel:WORD_0
	v_mul_u32_u24_sdwa v11, v63, v28 dst_sel:DWORD dst_unused:UNUSED_PAD src0_sel:WORD_0 src1_sel:DWORD
	ds_write_b64 v1, v[22:23] offset:16
	s_waitcnt lgkmcnt(0)
	s_barrier
	buffer_gl0_inv
	s_clause 0x1
	global_load_dwordx4 v[4:7], v8, s[12:13]
	global_load_dwordx4 v[0:3], v9, s[12:13]
	v_lshrrev_b32_e32 v105, 17, v10
	v_lshrrev_b32_e32 v73, 17, v11
	s_clause 0x1
	global_load_dwordx4 v[20:23], v8, s[12:13] offset:16
	global_load_dwordx4 v[16:19], v9, s[12:13] offset:16
	v_and_b32_e32 v70, 0xff, v52
	v_mul_lo_u16 v8, v105, 3
	v_mul_lo_u16 v9, v73, 3
	v_mul_u32_u24_sdwa v28, v62, v28 dst_sel:DWORD dst_unused:UNUSED_PAD src0_sel:WORD_0 src1_sel:DWORD
	v_add_nc_u32_e32 v82, 0x1800, v74
	v_mul_lo_u16 v30, 0xab, v70
	v_sub_nc_u16 v106, v64, v8
	v_sub_nc_u16 v104, v63, v9
	v_lshrrev_b32_e32 v71, 17, v28
	v_add_nc_u32_e32 v83, 0x3000, v74
	v_lshrrev_b16 v111, 9, v30
	v_lshlrev_b32_sdwa v24, v69, v106 dst_sel:DWORD dst_unused:UNUSED_PAD src0_sel:DWORD src1_sel:WORD_0
	v_lshlrev_b32_sdwa v29, v69, v104 dst_sel:DWORD dst_unused:UNUSED_PAD src0_sel:DWORD src1_sel:WORD_0
	s_clause 0x1
	global_load_dwordx4 v[12:15], v24, s[12:13]
	global_load_dwordx4 v[8:11], v29, s[12:13]
	v_mul_lo_u16 v28, v111, 3
	s_clause 0x1
	global_load_dwordx4 v[24:27], v24, s[12:13] offset:16
	global_load_dwordx4 v[44:47], v29, s[12:13] offset:16
	v_mul_lo_u16 v29, v71, 3
	v_add_nc_u32_e32 v102, 0x4800, v74
	v_sub_nc_u16 v112, v52, v28
	v_add_nc_u32_e32 v101, 0x6000, v74
	v_add_nc_u32_e32 v100, 0x2000, v74
	v_sub_nc_u16 v72, v62, v29
	v_add_nc_u32_e32 v99, 0x3800, v74
	v_lshlrev_b32_sdwa v32, v69, v112 dst_sel:DWORD dst_unused:UNUSED_PAD src0_sel:DWORD src1_sel:BYTE_0
	v_add_nc_u32_e32 v98, 0x5000, v74
	v_add_nc_u32_e32 v97, 0x6800, v74
	v_lshlrev_b32_sdwa v40, v69, v72 dst_sel:DWORD dst_unused:UNUSED_PAD src0_sel:DWORD src1_sel:WORD_0
	s_clause 0x3
	global_load_dwordx4 v[36:39], v32, s[12:13]
	global_load_dwordx4 v[28:31], v40, s[12:13]
	global_load_dwordx4 v[32:35], v32, s[12:13] offset:16
	global_load_dwordx4 v[40:43], v40, s[12:13] offset:16
	ds_read2_b64 v[48:51], v82 offset0:107 offset1:232
	ds_read2_b64 v[113:116], v83 offset0:89 offset1:214
	;; [unrolled: 1-line block ×5, first 2 shown]
	v_lshlrev_b32_e32 v57, 4, v61
	v_add_nc_u32_e32 v96, 0x2800, v74
	v_add_nc_u32_e32 v94, 0x4000, v74
	;; [unrolled: 1-line block ×3, first 2 shown]
	v_lshlrev_b32_e32 v80, 4, v62
	v_sub_nc_u32_e32 v95, v75, v57
	v_lshl_add_u32 v77, v63, 3, 0
	v_lshl_add_u32 v78, v65, 3, 0
	;; [unrolled: 1-line block ×3, first 2 shown]
	v_sub_nc_u32_e32 v81, v76, v80
	s_waitcnt vmcnt(11) lgkmcnt(4)
	v_mul_f32_e32 v103, v49, v5
	v_mul_f32_e32 v129, v48, v5
	s_waitcnt lgkmcnt(3)
	v_mul_f32_e32 v5, v114, v7
	v_mul_f32_e32 v130, v113, v7
	s_waitcnt vmcnt(10)
	v_mul_f32_e32 v131, v51, v1
	v_mul_f32_e32 v132, v50, v1
	v_fma_f32 v133, v48, v4, -v103
	v_fmac_f32_e32 v129, v49, v4
	v_fma_f32 v134, v113, v6, -v5
	v_fmac_f32_e32 v130, v114, v6
	ds_read2_b64 v[4:7], v99 offset0:83 offset1:208
	v_mul_f32_e32 v1, v116, v3
	v_fma_f32 v131, v50, v0, -v131
	v_fmac_f32_e32 v132, v51, v0
	s_waitcnt vmcnt(9) lgkmcnt(3)
	v_mul_f32_e32 v0, v118, v21
	v_mul_f32_e32 v137, v117, v21
	v_fma_f32 v136, v115, v2, -v1
	s_waitcnt lgkmcnt(2)
	v_mul_f32_e32 v1, v122, v23
	v_mul_f32_e32 v138, v121, v23
	v_fma_f32 v140, v117, v20, -v0
	s_waitcnt vmcnt(8)
	v_mul_f32_e32 v0, v124, v19
	v_mul_f32_e32 v135, v115, v3
	ds_read2_b64 v[48:51], v98 offset0:65 offset1:190
	v_fmac_f32_e32 v137, v118, v20
	v_fma_f32 v141, v121, v22, -v1
	v_fmac_f32_e32 v138, v122, v22
	ds_read2_b64 v[20:23], v97 offset0:47 offset1:172
	v_fma_f32 v144, v123, v18, -v0
	s_waitcnt vmcnt(7) lgkmcnt(3)
	v_mul_f32_e32 v0, v126, v13
	v_fmac_f32_e32 v135, v116, v2
	v_mul_f32_e32 v2, v120, v17
	v_mul_f32_e32 v139, v119, v17
	;; [unrolled: 1-line block ×3, first 2 shown]
	s_waitcnt lgkmcnt(2)
	v_mul_f32_e32 v146, v4, v15
	v_fma_f32 v125, v125, v12, -v0
	s_waitcnt vmcnt(6)
	v_mul_f32_e32 v0, v7, v11
	v_mul_f32_e32 v142, v123, v19
	v_fma_f32 v143, v119, v16, -v2
	v_fmac_f32_e32 v139, v120, v16
	ds_read2_b64 v[113:116], v96 offset0:95 offset1:220
	v_mul_f32_e32 v1, v5, v15
	v_fmac_f32_e32 v145, v126, v12
	v_fmac_f32_e32 v146, v5, v14
	v_mul_f32_e32 v12, v6, v11
	v_fma_f32 v16, v6, v10, -v0
	ds_read_b64 v[5:6], v95
	v_fmac_f32_e32 v142, v124, v18
	v_mul_f32_e32 v2, v128, v9
	v_mul_f32_e32 v13, v127, v9
	ds_read2_b64 v[117:120], v94 offset0:77 offset1:202
	ds_read2_b64 v[121:124], v93 offset0:59 offset1:184
	v_fma_f32 v126, v4, v14, -v1
	v_fma_f32 v15, v127, v8, -v2
	v_fmac_f32_e32 v13, v128, v8
	s_waitcnt vmcnt(5) lgkmcnt(5)
	v_mul_f32_e32 v0, v49, v25
	v_mul_f32_e32 v127, v48, v25
	s_waitcnt lgkmcnt(4)
	v_mul_f32_e32 v1, v21, v27
	v_mul_f32_e32 v128, v20, v27
	s_waitcnt vmcnt(4)
	v_mul_f32_e32 v2, v51, v45
	v_mul_f32_e32 v4, v23, v47
	;; [unrolled: 1-line block ×4, first 2 shown]
	v_fma_f32 v45, v48, v24, -v0
	v_fmac_f32_e32 v127, v49, v24
	v_fma_f32 v48, v20, v26, -v1
	ds_read_b64 v[0:1], v81
	v_fmac_f32_e32 v128, v21, v26
	v_fma_f32 v18, v50, v44, -v2
	ds_read_b64 v[2:3], v77
	v_fma_f32 v19, v22, v46, -v4
	v_fmac_f32_e32 v17, v23, v46
	ds_read_b64 v[20:21], v78
	ds_read_b64 v[22:23], v79
	ds_read_b64 v[24:25], v74 offset:29000
	ds_read_b64 v[26:27], v74
	v_fmac_f32_e32 v12, v7, v10
	s_waitcnt vmcnt(3) lgkmcnt(8)
	v_mul_f32_e32 v7, v37, v6
	v_mul_f32_e32 v37, v37, v5
	;; [unrolled: 1-line block ×4, first 2 shown]
	v_fmac_f32_e32 v14, v51, v44
	v_fma_f32 v44, v36, v5, -v7
	v_fmac_f32_e32 v37, v36, v6
	v_fma_f32 v36, v115, v38, -v8
	v_fmac_f32_e32 v39, v116, v38
	s_waitcnt vmcnt(1) lgkmcnt(7)
	v_mul_f32_e32 v8, v120, v33
	v_mul_f32_e32 v38, v119, v33
	s_waitcnt lgkmcnt(6)
	v_mul_f32_e32 v10, v124, v35
	v_mul_f32_e32 v35, v123, v35
	;; [unrolled: 1-line block ×3, first 2 shown]
	v_fma_f32 v46, v119, v32, -v8
	s_waitcnt vmcnt(0)
	v_mul_f32_e32 v8, v122, v41
	v_fmac_f32_e32 v38, v120, v32
	v_fmac_f32_e32 v35, v124, v34
	v_mul_f32_e32 v4, v113, v29
	v_fma_f32 v47, v123, v34, -v10
	v_fma_f32 v10, v121, v40, -v8
	s_waitcnt lgkmcnt(1)
	v_mul_f32_e32 v11, v25, v43
	v_mul_f32_e32 v8, v24, v43
	v_sub_f32_e32 v32, v37, v39
	v_sub_f32_e32 v33, v35, v38
	v_mov_b32_e32 v43, 0x78
	v_mov_b32_e32 v103, 3
	v_lshl_add_u32 v51, v64, 3, 0
	v_fma_f32 v7, v113, v28, -v9
	v_fmac_f32_e32 v4, v114, v28
	v_mul_u32_u24_sdwa v34, v111, v43 dst_sel:DWORD dst_unused:UNUSED_PAD src0_sel:WORD_0 src1_sel:DWORD
	v_lshlrev_b32_sdwa v111, v103, v112 dst_sel:DWORD dst_unused:UNUSED_PAD src0_sel:DWORD src1_sel:BYTE_0
	v_add_f32_e32 v112, v32, v33
	ds_read_b64 v[32:33], v51
	s_waitcnt lgkmcnt(1)
	v_add_f32_e32 v28, v26, v44
	v_add_f32_e32 v29, v27, v37
	v_mul_f32_e32 v6, v118, v31
	v_mul_f32_e32 v5, v117, v31
	v_fmac_f32_e32 v8, v25, v42
	v_add_f32_e32 v25, v28, v36
	v_add_f32_e32 v28, v29, v39
	v_fma_f32 v9, v117, v30, -v6
	v_fmac_f32_e32 v5, v118, v30
	v_mul_f32_e32 v6, v121, v41
	v_fma_f32 v11, v24, v42, -v11
	v_sub_f32_e32 v24, v44, v36
	v_sub_f32_e32 v29, v47, v46
	v_add_f32_e32 v30, v36, v46
	v_add_f32_e32 v31, v39, v38
	;; [unrolled: 1-line block ×4, first 2 shown]
	v_fmac_f32_e32 v6, v122, v40
	v_add_f32_e32 v40, v24, v29
	v_fma_f32 v29, -0.5, v31, v27
	v_add_f32_e32 v24, v25, v47
	v_add_f32_e32 v25, v28, v35
	v_fma_f32 v28, -0.5, v30, v26
	v_sub_f32_e32 v41, v37, v35
	v_sub_f32_e32 v42, v44, v47
	;; [unrolled: 1-line block ×4, first 2 shown]
	v_add3_u32 v111, 0, v34, v111
	v_fmamk_f32 v30, v41, 0x3f737871, v28
	v_fmamk_f32 v31, v42, 0xbf737871, v29
	v_add_f32_e32 v34, v44, v47
	v_sub_f32_e32 v36, v36, v44
	v_sub_f32_e32 v44, v46, v47
	v_fmac_f32_e32 v30, 0x3f167918, v49
	v_fmac_f32_e32 v31, 0xbf167918, v50
	v_add_f32_e32 v46, v37, v35
	v_fma_f32 v26, -0.5, v34, v26
	s_waitcnt lgkmcnt(0)
	v_fmac_f32_e32 v30, 0x3e9e377a, v40
	v_fmac_f32_e32 v31, 0x3e9e377a, v112
	v_fmac_f32_e32 v27, -0.5, v46
	s_barrier
	buffer_gl0_inv
	v_fmamk_f32 v34, v49, 0xbf737871, v26
	ds_write2_b64 v111, v[24:25], v[30:31] offset1:3
	v_fmac_f32_e32 v26, 0x3f737871, v49
	v_sub_f32_e32 v25, v39, v37
	v_sub_f32_e32 v30, v38, v35
	v_fmamk_f32 v35, v50, 0x3f737871, v27
	v_fmac_f32_e32 v27, 0xbf737871, v50
	v_fmac_f32_e32 v28, 0xbf737871, v41
	v_fmac_f32_e32 v29, 0x3f737871, v42
	v_add_f32_e32 v24, v36, v44
	v_fmac_f32_e32 v34, 0x3f167918, v41
	v_fmac_f32_e32 v26, 0xbf167918, v41
	v_add_f32_e32 v25, v25, v30
	v_fmac_f32_e32 v35, 0xbf167918, v42
	v_fmac_f32_e32 v27, 0x3f167918, v42
	;; [unrolled: 3-line block ×3, first 2 shown]
	v_fmac_f32_e32 v34, 0x3e9e377a, v24
	v_fmac_f32_e32 v26, 0x3e9e377a, v24
	;; [unrolled: 1-line block ×4, first 2 shown]
	v_add_f32_e32 v25, v30, v130
	v_sub_f32_e32 v30, v133, v134
	v_sub_f32_e32 v31, v141, v140
	v_fmac_f32_e32 v28, 0x3e9e377a, v40
	v_fmac_f32_e32 v29, 0x3e9e377a, v112
	ds_write2_b64 v111, v[34:35], v[26:27] offset0:6 offset1:9
	ds_write_b64 v111, v[28:29] offset:96
	v_add_f32_e32 v34, v30, v31
	v_add_f32_e32 v26, v134, v140
	v_sub_f32_e32 v28, v129, v130
	v_sub_f32_e32 v29, v138, v137
	v_mul_u32_u24_sdwa v30, v109, v43 dst_sel:DWORD dst_unused:UNUSED_PAD src0_sel:WORD_0 src1_sel:DWORD
	v_lshlrev_b32_sdwa v31, v103, v110 dst_sel:DWORD dst_unused:UNUSED_PAD src0_sel:DWORD src1_sel:BYTE_0
	v_add_f32_e32 v35, v133, v141
	v_add_f32_e32 v24, v22, v133
	v_fma_f32 v26, -0.5, v26, v22
	v_add_f32_e32 v36, v28, v29
	v_add3_u32 v37, 0, v30, v31
	v_fma_f32 v22, -0.5, v35, v22
	v_sub_f32_e32 v35, v130, v137
	v_sub_f32_e32 v29, v134, v133
	;; [unrolled: 1-line block ×3, first 2 shown]
	v_add_f32_e32 v27, v130, v137
	v_sub_f32_e32 v39, v129, v138
	v_fmamk_f32 v28, v35, 0xbf737871, v22
	v_fmac_f32_e32 v22, 0x3f737871, v35
	v_add_f32_e32 v29, v29, v30
	v_add_f32_e32 v30, v129, v138
	v_fma_f32 v27, -0.5, v27, v23
	v_sub_f32_e32 v31, v130, v129
	v_sub_f32_e32 v40, v137, v138
	v_sub_f32_e32 v41, v133, v141
	v_sub_f32_e32 v38, v134, v140
	v_fmac_f32_e32 v28, 0x3f167918, v39
	v_fmac_f32_e32 v22, 0xbf167918, v39
	v_fmac_f32_e32 v23, -0.5, v30
	v_add_f32_e32 v24, v24, v134
	v_add_f32_e32 v40, v31, v40
	v_fmamk_f32 v30, v39, 0x3f737871, v26
	v_fmamk_f32 v31, v41, 0xbf737871, v27
	v_fmac_f32_e32 v26, 0xbf737871, v39
	v_fmac_f32_e32 v27, 0x3f737871, v41
	;; [unrolled: 1-line block ×4, first 2 shown]
	v_fmamk_f32 v29, v38, 0x3f737871, v23
	v_fmac_f32_e32 v23, 0xbf737871, v38
	v_add_f32_e32 v24, v24, v140
	v_add_f32_e32 v25, v25, v137
	v_fmac_f32_e32 v30, 0x3f167918, v35
	v_fmac_f32_e32 v31, 0xbf167918, v38
	;; [unrolled: 1-line block ×6, first 2 shown]
	v_add_f32_e32 v24, v24, v141
	v_add_f32_e32 v25, v25, v138
	v_fmac_f32_e32 v30, 0x3e9e377a, v34
	v_fmac_f32_e32 v31, 0x3e9e377a, v36
	;; [unrolled: 1-line block ×6, first 2 shown]
	v_add_f32_e32 v35, v21, v132
	ds_write2_b64 v37, v[24:25], v[30:31] offset1:3
	ds_write2_b64 v37, v[28:29], v[22:23] offset0:6 offset1:9
	ds_write_b64 v37, v[26:27] offset:96
	v_sub_f32_e32 v24, v131, v136
	v_sub_f32_e32 v25, v144, v143
	v_add_f32_e32 v26, v136, v143
	v_add_f32_e32 v39, v131, v144
	;; [unrolled: 1-line block ×6, first 2 shown]
	v_fma_f32 v24, -0.5, v26, v20
	v_sub_f32_e32 v28, v132, v135
	v_sub_f32_e32 v29, v142, v139
	v_mul_u32_u24_e32 v35, 0x78, v107
	v_lshlrev_b32_sdwa v36, v103, v108 dst_sel:DWORD dst_unused:UNUSED_PAD src0_sel:DWORD src1_sel:WORD_0
	v_fma_f32 v20, -0.5, v39, v20
	v_add_f32_e32 v39, v132, v142
	v_add_f32_e32 v22, v34, v136
	v_fma_f32 v25, -0.5, v27, v21
	v_sub_f32_e32 v31, v132, v142
	v_sub_f32_e32 v34, v131, v144
	;; [unrolled: 1-line block ×4, first 2 shown]
	v_add_f32_e32 v40, v28, v29
	v_add3_u32 v35, 0, v35, v36
	v_sub_f32_e32 v29, v136, v131
	v_sub_f32_e32 v36, v143, v144
	v_fmac_f32_e32 v21, -0.5, v39
	v_fmamk_f32 v26, v31, 0x3f737871, v24
	v_fmamk_f32 v27, v34, 0xbf737871, v25
	v_fmac_f32_e32 v24, 0xbf737871, v31
	v_fmac_f32_e32 v25, 0x3f737871, v34
	v_fmamk_f32 v28, v37, 0xbf737871, v20
	v_add_f32_e32 v36, v29, v36
	v_fmac_f32_e32 v20, 0x3f737871, v37
	v_sub_f32_e32 v39, v135, v132
	v_sub_f32_e32 v41, v139, v142
	v_fmamk_f32 v29, v38, 0x3f737871, v21
	v_fmac_f32_e32 v21, 0xbf737871, v38
	v_add_f32_e32 v22, v22, v143
	v_add_f32_e32 v23, v23, v139
	v_fmac_f32_e32 v26, 0x3f167918, v37
	v_fmac_f32_e32 v27, 0xbf167918, v38
	;; [unrolled: 1-line block ×6, first 2 shown]
	v_add_f32_e32 v31, v39, v41
	v_fmac_f32_e32 v29, 0xbf167918, v34
	v_fmac_f32_e32 v21, 0x3f167918, v34
	v_add_f32_e32 v22, v22, v144
	v_add_f32_e32 v23, v23, v142
	v_fmac_f32_e32 v26, 0x3e9e377a, v30
	v_fmac_f32_e32 v27, 0x3e9e377a, v40
	v_fmac_f32_e32 v24, 0x3e9e377a, v30
	v_fmac_f32_e32 v25, 0x3e9e377a, v40
	v_fmac_f32_e32 v28, 0x3e9e377a, v36
	v_fmac_f32_e32 v20, 0x3e9e377a, v36
	v_fmac_f32_e32 v29, 0x3e9e377a, v31
	v_fmac_f32_e32 v21, 0x3e9e377a, v31
	v_add_f32_e32 v31, v33, v145
	ds_write2_b64 v35, v[22:23], v[26:27] offset1:3
	ds_write2_b64 v35, v[28:29], v[20:21] offset0:6 offset1:9
	ds_write_b64 v35, v[24:25] offset:96
	v_sub_f32_e32 v22, v125, v126
	v_sub_f32_e32 v23, v48, v45
	v_add_f32_e32 v24, v126, v45
	v_add_f32_e32 v37, v125, v48
	;; [unrolled: 1-line block ×6, first 2 shown]
	v_fma_f32 v22, -0.5, v24, v32
	v_sub_f32_e32 v26, v145, v146
	v_sub_f32_e32 v27, v128, v127
	v_mul_u32_u24_e32 v31, 0x78, v105
	v_lshlrev_b32_sdwa v34, v103, v106 dst_sel:DWORD dst_unused:UNUSED_PAD src0_sel:DWORD src1_sel:WORD_0
	v_fma_f32 v32, -0.5, v37, v32
	v_add_f32_e32 v37, v145, v128
	v_add_f32_e32 v20, v30, v126
	v_fma_f32 v23, -0.5, v25, v33
	v_sub_f32_e32 v29, v145, v128
	v_sub_f32_e32 v30, v125, v48
	v_sub_f32_e32 v35, v146, v127
	v_sub_f32_e32 v36, v126, v45
	v_add_f32_e32 v38, v26, v27
	v_add3_u32 v31, 0, v31, v34
	v_sub_f32_e32 v27, v126, v125
	v_sub_f32_e32 v34, v45, v48
	v_fmac_f32_e32 v33, -0.5, v37
	v_fmamk_f32 v24, v29, 0x3f737871, v22
	v_fmamk_f32 v25, v30, 0xbf737871, v23
	v_fmac_f32_e32 v22, 0xbf737871, v29
	v_fmamk_f32 v26, v35, 0xbf737871, v32
	v_add_f32_e32 v34, v27, v34
	v_fmac_f32_e32 v32, 0x3f737871, v35
	v_sub_f32_e32 v37, v146, v145
	v_sub_f32_e32 v39, v127, v128
	v_fmamk_f32 v27, v36, 0x3f737871, v33
	v_fmac_f32_e32 v33, 0xbf737871, v36
	v_add_f32_e32 v20, v20, v45
	v_add_f32_e32 v21, v21, v127
	v_fmac_f32_e32 v24, 0x3f167918, v35
	v_fmac_f32_e32 v25, 0xbf167918, v36
	;; [unrolled: 1-line block ×5, first 2 shown]
	v_add_f32_e32 v29, v37, v39
	v_fmac_f32_e32 v27, 0xbf167918, v30
	v_fmac_f32_e32 v33, 0x3f167918, v30
	v_add_f32_e32 v20, v20, v48
	v_add_f32_e32 v21, v21, v128
	v_fmac_f32_e32 v24, 0x3e9e377a, v28
	v_fmac_f32_e32 v25, 0x3e9e377a, v38
	;; [unrolled: 1-line block ×4, first 2 shown]
	v_add_f32_e32 v28, v2, v15
	v_fmac_f32_e32 v26, 0x3e9e377a, v34
	v_fmac_f32_e32 v32, 0x3e9e377a, v34
	;; [unrolled: 1-line block ×5, first 2 shown]
	ds_write2_b64 v31, v[20:21], v[24:25] offset1:3
	ds_write2_b64 v31, v[26:27], v[32:33] offset0:6 offset1:9
	v_add_f32_e32 v20, v28, v16
	v_fmac_f32_e32 v23, 0x3e9e377a, v38
	v_add_f32_e32 v29, v3, v13
	v_add_f32_e32 v24, v16, v18
	;; [unrolled: 1-line block ×4, first 2 shown]
	ds_write_b64 v31, v[22:23] offset:96
	v_sub_f32_e32 v22, v15, v16
	v_sub_f32_e32 v23, v19, v18
	;; [unrolled: 1-line block ×3, first 2 shown]
	v_add_f32_e32 v20, v20, v19
	v_sub_f32_e32 v34, v16, v18
	v_add_f32_e32 v35, v15, v19
	v_sub_f32_e32 v18, v18, v19
	v_add_f32_e32 v19, v13, v17
	v_add_f32_e32 v21, v29, v12
	;; [unrolled: 1-line block ×3, first 2 shown]
	v_fma_f32 v22, -0.5, v24, v2
	v_fma_f32 v23, -0.5, v25, v3
	v_sub_f32_e32 v29, v13, v17
	v_sub_f32_e32 v16, v16, v15
	v_fmac_f32_e32 v3, -0.5, v19
	v_sub_f32_e32 v33, v12, v14
	v_fma_f32 v2, -0.5, v35, v2
	v_sub_f32_e32 v27, v13, v12
	v_sub_f32_e32 v28, v17, v14
	v_fmamk_f32 v24, v29, 0x3f737871, v22
	v_fmamk_f32 v25, v30, 0xbf737871, v23
	v_add_f32_e32 v18, v16, v18
	v_sub_f32_e32 v12, v12, v13
	v_sub_f32_e32 v13, v14, v17
	v_fmamk_f32 v16, v34, 0x3f737871, v3
	v_fmac_f32_e32 v3, 0xbf737871, v34
	v_fmamk_f32 v15, v33, 0xbf737871, v2
	v_fmac_f32_e32 v2, 0x3f737871, v33
	v_add_f32_e32 v21, v21, v14
	v_mul_u32_u24_e32 v31, 0x78, v73
	v_lshlrev_b32_sdwa v32, v103, v104 dst_sel:DWORD dst_unused:UNUSED_PAD src0_sel:DWORD src1_sel:WORD_0
	v_add_f32_e32 v27, v27, v28
	v_fmac_f32_e32 v24, 0x3f167918, v33
	v_fmac_f32_e32 v25, 0xbf167918, v34
	v_add_f32_e32 v12, v12, v13
	v_fmac_f32_e32 v16, 0xbf167918, v30
	v_fmac_f32_e32 v3, 0x3f167918, v30
	;; [unrolled: 1-line block ×6, first 2 shown]
	v_add_f32_e32 v21, v21, v17
	v_add3_u32 v28, 0, v31, v32
	v_fmac_f32_e32 v24, 0x3e9e377a, v26
	v_fmac_f32_e32 v25, 0x3e9e377a, v27
	;; [unrolled: 1-line block ×4, first 2 shown]
	v_add_f32_e32 v12, v0, v7
	v_fmac_f32_e32 v15, 0x3e9e377a, v18
	v_fmac_f32_e32 v2, 0x3e9e377a, v18
	;; [unrolled: 1-line block ×4, first 2 shown]
	v_add_f32_e32 v13, v1, v4
	ds_write2_b64 v28, v[20:21], v[24:25] offset1:3
	ds_write2_b64 v28, v[15:16], v[2:3] offset0:6 offset1:9
	v_add_f32_e32 v2, v12, v9
	v_fmac_f32_e32 v22, 0x3e9e377a, v26
	v_fmac_f32_e32 v23, 0x3e9e377a, v27
	v_add_f32_e32 v3, v13, v5
	v_sub_f32_e32 v12, v7, v9
	v_sub_f32_e32 v13, v11, v10
	v_add_f32_e32 v14, v9, v10
	v_add_f32_e32 v24, v7, v11
	;; [unrolled: 1-line block ×3, first 2 shown]
	ds_write_b64 v28, v[22:23] offset:96
	v_add_f32_e32 v15, v5, v6
	v_add_f32_e32 v16, v12, v13
	v_fma_f32 v12, -0.5, v14, v0
	v_sub_f32_e32 v22, v5, v6
	v_fma_f32 v0, -0.5, v24, v0
	v_add_f32_e32 v2, v2, v11
	v_sub_f32_e32 v20, v7, v11
	v_sub_f32_e32 v25, v9, v10
	;; [unrolled: 1-line block ×3, first 2 shown]
	v_add_f32_e32 v11, v4, v8
	v_fma_f32 v13, -0.5, v15, v1
	v_sub_f32_e32 v17, v4, v5
	v_sub_f32_e32 v18, v4, v8
	;; [unrolled: 1-line block ×3, first 2 shown]
	v_fmamk_f32 v7, v22, 0xbf737871, v0
	v_fmac_f32_e32 v0, 0x3f737871, v22
	v_sub_f32_e32 v4, v5, v4
	v_sub_f32_e32 v5, v6, v8
	v_add_f32_e32 v3, v3, v6
	v_fmac_f32_e32 v1, -0.5, v11
	v_sub_f32_e32 v19, v8, v6
	v_fmamk_f32 v14, v18, 0x3f737871, v12
	v_fmamk_f32 v15, v20, 0xbf737871, v13
	v_add_f32_e32 v9, v9, v10
	v_fmac_f32_e32 v7, 0x3f167918, v18
	v_fmac_f32_e32 v0, 0xbf167918, v18
	v_mul_lo_u16 v6, 0x89, v68
	v_add_f32_e32 v4, v4, v5
	v_mov_b32_e32 v5, 0x8889
	v_add_f32_e32 v3, v3, v8
	v_fmamk_f32 v8, v25, 0x3f737871, v1
	v_fmac_f32_e32 v1, 0xbf737871, v25
	v_mul_u32_u24_e32 v21, 0x78, v71
	v_lshlrev_b32_sdwa v23, v103, v72 dst_sel:DWORD dst_unused:UNUSED_PAD src0_sel:DWORD src1_sel:WORD_0
	v_fmac_f32_e32 v14, 0x3f167918, v22
	v_add_f32_e32 v17, v17, v19
	v_fmac_f32_e32 v15, 0xbf167918, v25
	v_fmac_f32_e32 v7, 0x3e9e377a, v9
	;; [unrolled: 1-line block ×3, first 2 shown]
	v_lshrrev_b16 v40, 11, v6
	v_mul_u32_u24_sdwa v9, v65, v5 dst_sel:DWORD dst_unused:UNUSED_PAD src0_sel:WORD_0 src1_sel:DWORD
	v_fmac_f32_e32 v8, 0xbf167918, v20
	v_fmac_f32_e32 v1, 0x3f167918, v20
	v_add3_u32 v19, 0, v21, v23
	v_fmac_f32_e32 v14, 0x3e9e377a, v16
	v_fmac_f32_e32 v15, 0x3e9e377a, v17
	;; [unrolled: 1-line block ×4, first 2 shown]
	v_mul_lo_u16 v6, v40, 15
	v_lshrrev_b32_e32 v36, 19, v9
	v_fmac_f32_e32 v8, 0x3e9e377a, v4
	v_fmac_f32_e32 v1, 0x3e9e377a, v4
	;; [unrolled: 1-line block ×4, first 2 shown]
	v_sub_nc_u16 v47, v56, v6
	ds_write2_b64 v19, v[2:3], v[14:15] offset1:3
	ds_write2_b64 v19, v[7:8], v[0:1] offset0:6 offset1:9
	v_mul_lo_u16 v1, v36, 15
	v_fmac_f32_e32 v12, 0x3e9e377a, v16
	v_fmac_f32_e32 v13, 0x3e9e377a, v17
	v_lshlrev_b32_sdwa v0, v69, v47 dst_sel:DWORD dst_unused:UNUSED_PAD src0_sel:DWORD src1_sel:BYTE_0
	v_mul_u32_u24_sdwa v2, v64, v5 dst_sel:DWORD dst_unused:UNUSED_PAD src0_sel:WORD_0 src1_sel:DWORD
	v_sub_nc_u16 v37, v65, v1
	ds_write_b64 v19, v[12:13] offset:96
	s_waitcnt lgkmcnt(0)
	s_barrier
	buffer_gl0_inv
	s_clause 0x1
	global_load_dwordx4 v[16:19], v0, s[12:13] offset:96
	global_load_dwordx4 v[24:27], v0, s[12:13] offset:112
	v_lshlrev_b32_sdwa v1, v69, v37 dst_sel:DWORD dst_unused:UNUSED_PAD src0_sel:DWORD src1_sel:WORD_0
	v_lshrrev_b32_e32 v34, 19, v2
	v_mul_u32_u24_sdwa v0, v63, v5 dst_sel:DWORD dst_unused:UNUSED_PAD src0_sel:WORD_0 src1_sel:DWORD
	s_clause 0x1
	global_load_dwordx4 v[20:23], v1, s[12:13] offset:96
	global_load_dwordx4 v[41:44], v1, s[12:13] offset:112
	v_mul_lo_u16 v2, v34, 15
	v_lshrrev_b32_e32 v30, 19, v0
	v_sub_nc_u16 v35, v64, v2
	v_mul_lo_u16 v0, v30, 15
	v_mul_lo_u16 v2, 0x89, v70
	v_lshlrev_b32_sdwa v1, v69, v35 dst_sel:DWORD dst_unused:UNUSED_PAD src0_sel:DWORD src1_sel:WORD_0
	v_sub_nc_u16 v31, v63, v0
	v_lshrrev_b16 v120, 11, v2
	s_clause 0x1
	global_load_dwordx4 v[122:125], v1, s[12:13] offset:96
	global_load_dwordx4 v[130:133], v1, s[12:13] offset:112
	v_lshlrev_b32_sdwa v0, v69, v31 dst_sel:DWORD dst_unused:UNUSED_PAD src0_sel:DWORD src1_sel:WORD_0
	v_mul_u32_u24_sdwa v1, v62, v5 dst_sel:DWORD dst_unused:UNUSED_PAD src0_sel:WORD_0 src1_sel:DWORD
	v_mul_lo_u16 v2, v120, 15
	s_clause 0x1
	global_load_dwordx4 v[126:129], v0, s[12:13] offset:96
	global_load_dwordx4 v[134:137], v0, s[12:13] offset:112
	v_lshrrev_b32_e32 v32, 19, v1
	v_sub_nc_u16 v121, v52, v2
	v_mul_lo_u16 v0, v32, 15
	v_lshlrev_b32_sdwa v8, v69, v121 dst_sel:DWORD dst_unused:UNUSED_PAD src0_sel:DWORD src1_sel:BYTE_0
	v_lshlrev_b32_sdwa v121, v103, v121 dst_sel:DWORD dst_unused:UNUSED_PAD src0_sel:DWORD src1_sel:BYTE_0
	v_sub_nc_u16 v33, v62, v0
	global_load_dwordx4 v[4:7], v8, s[12:13] offset:96
	v_lshlrev_b32_sdwa v12, v69, v33 dst_sel:DWORD dst_unused:UNUSED_PAD src0_sel:DWORD src1_sel:WORD_0
	s_clause 0x2
	global_load_dwordx4 v[0:3], v12, s[12:13] offset:96
	global_load_dwordx4 v[8:11], v8, s[12:13] offset:112
	;; [unrolled: 1-line block ×3, first 2 shown]
	ds_read2_b64 v[69:72], v82 offset0:107 offset1:232
	ds_read2_b64 v[106:109], v83 offset0:89 offset1:214
	;; [unrolled: 1-line block ×5, first 2 shown]
	s_waitcnt vmcnt(11) lgkmcnt(4)
	v_mul_f32_e32 v28, v70, v17
	v_mul_f32_e32 v113, v69, v17
	s_waitcnt lgkmcnt(3)
	v_mul_f32_e32 v115, v106, v19
	v_mul_f32_e32 v17, v107, v19
	s_waitcnt vmcnt(10) lgkmcnt(2)
	v_mul_f32_e32 v117, v138, v25
	v_fma_f32 v112, v69, v16, -v28
	v_fmac_f32_e32 v113, v70, v16
	s_waitcnt vmcnt(9)
	v_mul_f32_e32 v16, v72, v21
	v_mul_f32_e32 v104, v71, v21
	v_fmac_f32_e32 v115, v107, v18
	v_mul_f32_e32 v21, v109, v23
	v_fma_f32 v114, v106, v18, -v17
	v_fma_f32 v107, v71, v20, -v16
	v_fmac_f32_e32 v104, v72, v20
	v_mul_f32_e32 v20, v139, v25
	ds_read2_b64 v[16:19], v100 offset0:101 offset1:226
	v_mul_f32_e32 v105, v108, v23
	v_fma_f32 v108, v108, v22, -v21
	s_waitcnt lgkmcnt(2)
	v_mul_f32_e32 v21, v143, v27
	v_fma_f32 v116, v138, v24, -v20
	s_waitcnt vmcnt(8)
	v_mul_f32_e32 v20, v141, v42
	v_fmac_f32_e32 v105, v109, v22
	v_mul_f32_e32 v119, v142, v27
	v_fma_f32 v118, v142, v26, -v21
	v_fmac_f32_e32 v117, v139, v24
	v_fma_f32 v110, v140, v41, -v20
	ds_read2_b64 v[20:23], v98 offset0:65 offset1:190
	v_fmac_f32_e32 v119, v143, v26
	ds_read2_b64 v[24:27], v97 offset0:47 offset1:172
	v_mul_f32_e32 v28, v145, v44
	v_mul_f32_e32 v106, v140, v42
	;; [unrolled: 1-line block ×3, first 2 shown]
	s_waitcnt vmcnt(7) lgkmcnt(3)
	v_mul_f32_e32 v49, v146, v125
	s_waitcnt vmcnt(5)
	v_mul_f32_e32 v39, v148, v129
	v_fma_f32 v111, v144, v43, -v28
	s_waitcnt lgkmcnt(2)
	v_mul_f32_e32 v29, v17, v123
	v_mul_f32_e32 v48, v16, v123
	;; [unrolled: 1-line block ×4, first 2 shown]
	v_fmac_f32_e32 v106, v141, v41
	v_fma_f32 v69, v16, v122, -v29
	v_fmac_f32_e32 v48, v17, v122
	v_mul_f32_e32 v16, v19, v127
	v_mul_f32_e32 v17, v149, v129
	v_fma_f32 v71, v146, v124, -v28
	v_fmac_f32_e32 v38, v19, v126
	s_waitcnt lgkmcnt(1)
	v_mul_f32_e32 v41, v21, v131
	v_fma_f32 v42, v18, v126, -v16
	v_fma_f32 v44, v148, v128, -v17
	ds_read_b64 v[28:29], v95
	ds_read2_b64 v[16:19], v96 offset0:95 offset1:220
	v_fmac_f32_e32 v109, v145, v43
	v_mul_f32_e32 v50, v20, v131
	s_waitcnt lgkmcnt(2)
	v_mul_f32_e32 v43, v25, v133
	v_fma_f32 v72, v20, v130, -v41
	s_waitcnt vmcnt(4)
	v_mul_f32_e32 v20, v23, v135
	v_mul_f32_e32 v41, v22, v135
	v_mul_f32_e32 v70, v24, v133
	v_fmac_f32_e32 v50, v21, v130
	v_fma_f32 v73, v24, v132, -v43
	v_mul_f32_e32 v24, v27, v137
	v_mul_f32_e32 v43, v26, v137
	v_fma_f32 v45, v22, v134, -v20
	v_fmac_f32_e32 v41, v23, v134
	ds_read2_b64 v[20:23], v94 offset0:77 offset1:202
	v_fmac_f32_e32 v49, v147, v124
	v_fmac_f32_e32 v70, v25, v132
	v_fma_f32 v46, v26, v136, -v24
	v_fmac_f32_e32 v43, v27, v136
	ds_read_b64 v[24:25], v81
	ds_read_b64 v[26:27], v77
	ds_read2_b64 v[122:125], v93 offset0:59 offset1:184
	s_waitcnt vmcnt(3) lgkmcnt(5)
	v_mul_f32_e32 v126, v5, v29
	v_mul_f32_e32 v130, v5, v28
	s_waitcnt lgkmcnt(4)
	v_mul_f32_e32 v5, v7, v19
	v_mul_f32_e32 v131, v7, v18
	v_fmac_f32_e32 v39, v149, v128
	v_fma_f32 v132, v4, v28, -v126
	v_fmac_f32_e32 v130, v4, v29
	v_fma_f32 v133, v6, v18, -v5
	v_fmac_f32_e32 v131, v6, v19
	ds_read_b64 v[18:19], v74 offset:29000
	ds_read_b64 v[28:29], v79
	ds_read_b64 v[126:127], v74
	s_waitcnt vmcnt(2)
	v_mul_f32_e32 v4, v17, v1
	v_mul_f32_e32 v1, v16, v1
	ds_read_b64 v[128:129], v78
	s_waitcnt lgkmcnt(7)
	v_mul_f32_e32 v5, v21, v3
	v_mul_f32_e32 v3, v20, v3
	v_fma_f32 v4, v16, v0, -v4
	v_fmac_f32_e32 v1, v17, v0
	s_waitcnt vmcnt(1)
	v_mul_f32_e32 v0, v9, v23
	v_fma_f32 v5, v20, v2, -v5
	v_mul_f32_e32 v17, v9, v22
	v_fmac_f32_e32 v3, v21, v2
	s_waitcnt lgkmcnt(4)
	v_mul_f32_e32 v2, v125, v11
	v_mul_f32_e32 v20, v124, v11
	v_fma_f32 v16, v8, v22, -v0
	v_fmac_f32_e32 v17, v8, v23
	s_waitcnt vmcnt(0)
	v_mul_f32_e32 v6, v123, v13
	v_fma_f32 v21, v124, v10, -v2
	v_mul_f32_e32 v0, v122, v13
	v_fmac_f32_e32 v20, v125, v10
	s_waitcnt lgkmcnt(3)
	v_mul_f32_e32 v7, v19, v15
	v_fma_f32 v6, v122, v12, -v6
	v_mul_f32_e32 v2, v18, v15
	v_fmac_f32_e32 v0, v123, v12
	v_sub_f32_e32 v10, v132, v133
	v_sub_f32_e32 v11, v21, v16
	v_add_f32_e32 v12, v133, v16
	v_add_f32_e32 v13, v131, v17
	s_waitcnt lgkmcnt(1)
	v_add_f32_e32 v8, v126, v132
	v_fma_f32 v7, v18, v14, -v7
	v_add_f32_e32 v9, v127, v130
	v_fmac_f32_e32 v2, v19, v14
	v_add_f32_e32 v18, v10, v11
	v_fma_f32 v10, -0.5, v12, v126
	v_fma_f32 v11, -0.5, v13, v127
	v_sub_f32_e32 v19, v130, v20
	v_sub_f32_e32 v22, v132, v21
	v_mov_b32_e32 v23, 0x258
	v_add_f32_e32 v8, v8, v133
	v_add_f32_e32 v9, v9, v131
	v_sub_f32_e32 v14, v130, v131
	v_sub_f32_e32 v15, v20, v17
	;; [unrolled: 1-line block ×3, first 2 shown]
	v_fmamk_f32 v12, v19, 0x3f737871, v10
	v_fmamk_f32 v13, v22, 0xbf737871, v11
	v_sub_f32_e32 v123, v133, v16
	v_mul_u32_u24_sdwa v120, v120, v23 dst_sel:DWORD dst_unused:UNUSED_PAD src0_sel:WORD_0 src1_sel:DWORD
	v_add_f32_e32 v8, v8, v16
	v_add_f32_e32 v9, v9, v17
	v_fmac_f32_e32 v12, 0x3f167918, v122
	v_add_f32_e32 v124, v14, v15
	ds_read_b64 v[14:15], v51
	v_fmac_f32_e32 v13, 0xbf167918, v123
	v_add3_u32 v120, 0, v120, v121
	v_add_f32_e32 v121, v132, v21
	v_add_f32_e32 v125, v130, v20
	;; [unrolled: 1-line block ×4, first 2 shown]
	v_fmac_f32_e32 v12, 0x3e9e377a, v18
	v_fmac_f32_e32 v13, 0x3e9e377a, v124
	v_fma_f32 v126, -0.5, v121, v126
	v_fmac_f32_e32 v127, -0.5, v125
	s_waitcnt lgkmcnt(0)
	s_barrier
	v_sub_f32_e32 v121, v133, v132
	v_sub_f32_e32 v21, v16, v21
	buffer_gl0_inv
	v_fmamk_f32 v16, v122, 0xbf737871, v126
	ds_write2_b64 v120, v[8:9], v[12:13] offset1:15
	v_fmac_f32_e32 v126, 0x3f737871, v122
	v_sub_f32_e32 v9, v131, v130
	v_sub_f32_e32 v12, v17, v20
	v_fmamk_f32 v17, v123, 0x3f737871, v127
	v_fmac_f32_e32 v127, 0xbf737871, v123
	v_fmac_f32_e32 v10, 0xbf737871, v19
	;; [unrolled: 1-line block ×3, first 2 shown]
	v_add_f32_e32 v8, v121, v21
	v_fmac_f32_e32 v16, 0x3f167918, v19
	v_fmac_f32_e32 v126, 0xbf167918, v19
	v_add_f32_e32 v9, v9, v12
	v_fmac_f32_e32 v17, 0xbf167918, v22
	v_fmac_f32_e32 v127, 0x3f167918, v22
	;; [unrolled: 1-line block ×4, first 2 shown]
	v_add_f32_e32 v12, v29, v113
	v_fmac_f32_e32 v16, 0x3e9e377a, v8
	v_fmac_f32_e32 v126, 0x3e9e377a, v8
	v_fmac_f32_e32 v17, 0x3e9e377a, v9
	v_fmac_f32_e32 v127, 0x3e9e377a, v9
	v_fmac_f32_e32 v10, 0x3e9e377a, v18
	v_fmac_f32_e32 v11, 0x3e9e377a, v124
	v_add_f32_e32 v9, v12, v115
	v_sub_f32_e32 v12, v112, v114
	v_sub_f32_e32 v13, v118, v116
	ds_write2_b64 v120, v[16:17], v[126:127] offset0:30 offset1:45
	ds_write_b64 v120, v[10:11] offset:480
	v_mul_u32_u24_sdwa v16, v40, v23 dst_sel:DWORD dst_unused:UNUSED_PAD src0_sel:WORD_0 src1_sel:DWORD
	v_lshlrev_b32_sdwa v17, v103, v47 dst_sel:DWORD dst_unused:UNUSED_PAD src0_sel:DWORD src1_sel:BYTE_0
	v_add_f32_e32 v10, v114, v116
	v_add_f32_e32 v18, v12, v13
	;; [unrolled: 1-line block ×3, first 2 shown]
	v_sub_f32_e32 v12, v113, v115
	v_sub_f32_e32 v13, v119, v117
	v_add_f32_e32 v19, v112, v118
	v_add3_u32 v21, 0, v16, v17
	v_add_f32_e32 v16, v113, v119
	v_add_f32_e32 v8, v28, v112
	v_fma_f32 v10, -0.5, v10, v28
	v_fma_f32 v11, -0.5, v11, v29
	v_add_f32_e32 v20, v12, v13
	v_sub_f32_e32 v13, v115, v113
	v_sub_f32_e32 v22, v113, v119
	;; [unrolled: 1-line block ×6, first 2 shown]
	v_fma_f32 v28, -0.5, v19, v28
	v_sub_f32_e32 v19, v115, v117
	v_sub_f32_e32 v112, v114, v116
	v_fmac_f32_e32 v29, -0.5, v16
	v_add_f32_e32 v8, v8, v114
	v_add_f32_e32 v23, v23, v40
	;; [unrolled: 1-line block ×3, first 2 shown]
	v_fmamk_f32 v16, v22, 0x3f737871, v10
	v_fmamk_f32 v17, v47, 0xbf737871, v11
	v_fmac_f32_e32 v10, 0xbf737871, v22
	v_fmac_f32_e32 v11, 0x3f737871, v47
	v_fmamk_f32 v12, v19, 0xbf737871, v28
	v_fmac_f32_e32 v28, 0x3f737871, v19
	v_fmamk_f32 v13, v112, 0x3f737871, v29
	v_fmac_f32_e32 v29, 0xbf737871, v112
	v_add_f32_e32 v8, v8, v116
	v_add_f32_e32 v9, v9, v117
	v_fmac_f32_e32 v16, 0x3f167918, v19
	v_fmac_f32_e32 v17, 0xbf167918, v112
	;; [unrolled: 1-line block ×8, first 2 shown]
	v_add_f32_e32 v8, v8, v118
	v_add_f32_e32 v9, v9, v119
	v_fmac_f32_e32 v16, 0x3e9e377a, v18
	v_fmac_f32_e32 v17, 0x3e9e377a, v20
	;; [unrolled: 1-line block ×8, first 2 shown]
	v_add_f32_e32 v18, v128, v107
	ds_write2_b64 v21, v[8:9], v[16:17] offset1:15
	ds_write2_b64 v21, v[12:13], v[28:29] offset0:30 offset1:45
	ds_write_b64 v21, v[10:11] offset:480
	v_sub_f32_e32 v10, v107, v108
	v_sub_f32_e32 v11, v111, v110
	v_add_f32_e32 v12, v108, v110
	v_add_f32_e32 v29, v107, v111
	;; [unrolled: 1-line block ×6, first 2 shown]
	v_fma_f32 v10, -0.5, v12, v128
	v_sub_f32_e32 v16, v104, v105
	v_sub_f32_e32 v17, v109, v106
	v_mul_u32_u24_e32 v21, 0x258, v36
	v_lshlrev_b32_sdwa v22, v103, v37 dst_sel:DWORD dst_unused:UNUSED_PAD src0_sel:DWORD src1_sel:WORD_0
	v_fma_f32 v128, -0.5, v29, v128
	v_add_f32_e32 v29, v104, v109
	v_add_f32_e32 v9, v19, v105
	v_fma_f32 v11, -0.5, v13, v129
	v_sub_f32_e32 v19, v104, v109
	v_sub_f32_e32 v20, v107, v111
	;; [unrolled: 1-line block ×4, first 2 shown]
	v_add_f32_e32 v36, v16, v17
	v_add3_u32 v21, 0, v21, v22
	v_sub_f32_e32 v17, v108, v107
	v_sub_f32_e32 v22, v110, v111
	v_fmac_f32_e32 v129, -0.5, v29
	v_fmamk_f32 v12, v19, 0x3f737871, v10
	v_fmamk_f32 v13, v20, 0xbf737871, v11
	v_fmac_f32_e32 v10, 0xbf737871, v19
	v_fmac_f32_e32 v11, 0x3f737871, v20
	v_fmamk_f32 v16, v23, 0xbf737871, v128
	v_add_f32_e32 v22, v17, v22
	v_fmac_f32_e32 v128, 0x3f737871, v23
	v_sub_f32_e32 v29, v105, v104
	v_sub_f32_e32 v37, v106, v109
	v_fmamk_f32 v17, v28, 0x3f737871, v129
	v_fmac_f32_e32 v129, 0xbf737871, v28
	v_add_f32_e32 v8, v8, v110
	v_add_f32_e32 v9, v9, v106
	v_fmac_f32_e32 v12, 0x3f167918, v23
	v_fmac_f32_e32 v13, 0xbf167918, v28
	;; [unrolled: 1-line block ×6, first 2 shown]
	v_add_f32_e32 v19, v29, v37
	v_fmac_f32_e32 v17, 0xbf167918, v20
	v_fmac_f32_e32 v129, 0x3f167918, v20
	v_add_f32_e32 v8, v8, v111
	v_add_f32_e32 v9, v9, v109
	v_fmac_f32_e32 v12, 0x3e9e377a, v18
	v_fmac_f32_e32 v13, 0x3e9e377a, v36
	;; [unrolled: 1-line block ×8, first 2 shown]
	v_add_f32_e32 v18, v14, v69
	ds_write2_b64 v21, v[8:9], v[12:13] offset1:15
	ds_write2_b64 v21, v[16:17], v[128:129] offset0:30 offset1:45
	ds_write_b64 v21, v[10:11] offset:480
	v_sub_f32_e32 v10, v69, v71
	v_sub_f32_e32 v11, v73, v72
	v_add_f32_e32 v12, v71, v72
	v_add_f32_e32 v29, v69, v73
	;; [unrolled: 1-line block ×6, first 2 shown]
	v_fma_f32 v10, -0.5, v12, v14
	v_sub_f32_e32 v16, v48, v49
	v_sub_f32_e32 v17, v70, v50
	v_mul_u32_u24_e32 v21, 0x258, v34
	v_lshlrev_b32_sdwa v22, v103, v35 dst_sel:DWORD dst_unused:UNUSED_PAD src0_sel:DWORD src1_sel:WORD_0
	v_fma_f32 v14, -0.5, v29, v14
	v_add_f32_e32 v29, v48, v70
	v_add_f32_e32 v9, v19, v49
	v_fma_f32 v11, -0.5, v13, v15
	v_sub_f32_e32 v19, v48, v70
	v_sub_f32_e32 v20, v69, v73
	;; [unrolled: 1-line block ×4, first 2 shown]
	v_add_f32_e32 v34, v16, v17
	v_add3_u32 v21, 0, v21, v22
	v_sub_f32_e32 v17, v71, v69
	v_sub_f32_e32 v22, v72, v73
	v_fmac_f32_e32 v15, -0.5, v29
	v_fmamk_f32 v12, v19, 0x3f737871, v10
	v_fmamk_f32 v13, v20, 0xbf737871, v11
	v_fmac_f32_e32 v10, 0xbf737871, v19
	v_fmac_f32_e32 v11, 0x3f737871, v20
	v_fmamk_f32 v16, v23, 0xbf737871, v14
	v_add_f32_e32 v22, v17, v22
	v_fmac_f32_e32 v14, 0x3f737871, v23
	v_sub_f32_e32 v29, v49, v48
	v_sub_f32_e32 v35, v50, v70
	v_fmamk_f32 v17, v28, 0x3f737871, v15
	v_fmac_f32_e32 v15, 0xbf737871, v28
	v_add_f32_e32 v8, v8, v72
	v_add_f32_e32 v9, v9, v50
	v_fmac_f32_e32 v12, 0x3f167918, v23
	v_fmac_f32_e32 v13, 0xbf167918, v28
	;; [unrolled: 1-line block ×6, first 2 shown]
	v_add_f32_e32 v19, v29, v35
	v_fmac_f32_e32 v17, 0xbf167918, v20
	v_fmac_f32_e32 v15, 0x3f167918, v20
	v_add_f32_e32 v8, v8, v73
	v_add_f32_e32 v9, v9, v70
	v_fmac_f32_e32 v12, 0x3e9e377a, v18
	v_fmac_f32_e32 v13, 0x3e9e377a, v34
	v_fmac_f32_e32 v10, 0x3e9e377a, v18
	v_fmac_f32_e32 v11, 0x3e9e377a, v34
	v_fmac_f32_e32 v16, 0x3e9e377a, v22
	v_fmac_f32_e32 v14, 0x3e9e377a, v22
	v_fmac_f32_e32 v17, 0x3e9e377a, v19
	v_fmac_f32_e32 v15, 0x3e9e377a, v19
	v_add_f32_e32 v19, v27, v38
	ds_write2_b64 v21, v[8:9], v[12:13] offset1:15
	ds_write2_b64 v21, v[16:17], v[14:15] offset0:30 offset1:45
	ds_write_b64 v21, v[10:11] offset:480
	v_sub_f32_e32 v10, v42, v44
	v_sub_f32_e32 v11, v46, v45
	v_add_f32_e32 v12, v44, v45
	v_add_f32_e32 v22, v42, v46
	;; [unrolled: 1-line block ×6, first 2 shown]
	v_fma_f32 v10, -0.5, v12, v26
	v_sub_f32_e32 v14, v38, v39
	v_sub_f32_e32 v15, v43, v41
	v_mul_u32_u24_e32 v19, 0x258, v30
	v_lshlrev_b32_sdwa v20, v103, v31 dst_sel:DWORD dst_unused:UNUSED_PAD src0_sel:DWORD src1_sel:WORD_0
	v_fma_f32 v26, -0.5, v22, v26
	v_add_f32_e32 v22, v38, v43
	v_add_f32_e32 v8, v18, v44
	v_fma_f32 v11, -0.5, v13, v27
	v_sub_f32_e32 v17, v38, v43
	v_sub_f32_e32 v18, v42, v46
	;; [unrolled: 1-line block ×4, first 2 shown]
	v_add_f32_e32 v28, v14, v15
	v_add3_u32 v19, 0, v19, v20
	v_sub_f32_e32 v15, v44, v42
	v_sub_f32_e32 v20, v45, v46
	v_fmac_f32_e32 v27, -0.5, v22
	v_fmamk_f32 v12, v17, 0x3f737871, v10
	v_fmamk_f32 v13, v18, 0xbf737871, v11
	v_fmac_f32_e32 v10, 0xbf737871, v17
	v_fmamk_f32 v14, v21, 0xbf737871, v26
	v_add_f32_e32 v20, v15, v20
	v_fmac_f32_e32 v26, 0x3f737871, v21
	v_sub_f32_e32 v22, v39, v38
	v_sub_f32_e32 v29, v41, v43
	v_fmamk_f32 v15, v23, 0x3f737871, v27
	v_fmac_f32_e32 v27, 0xbf737871, v23
	v_add_f32_e32 v8, v8, v45
	v_add_f32_e32 v9, v9, v41
	v_fmac_f32_e32 v12, 0x3f167918, v21
	v_fmac_f32_e32 v13, 0xbf167918, v23
	;; [unrolled: 1-line block ×5, first 2 shown]
	v_add_f32_e32 v17, v22, v29
	v_fmac_f32_e32 v15, 0xbf167918, v18
	v_fmac_f32_e32 v27, 0x3f167918, v18
	v_add_f32_e32 v8, v8, v46
	v_add_f32_e32 v9, v9, v43
	v_fmac_f32_e32 v12, 0x3e9e377a, v16
	v_fmac_f32_e32 v13, 0x3e9e377a, v28
	;; [unrolled: 1-line block ×4, first 2 shown]
	v_add_f32_e32 v16, v24, v4
	v_fmac_f32_e32 v14, 0x3e9e377a, v20
	v_fmac_f32_e32 v26, 0x3e9e377a, v20
	;; [unrolled: 1-line block ×5, first 2 shown]
	ds_write2_b64 v19, v[8:9], v[12:13] offset1:15
	ds_write2_b64 v19, v[14:15], v[26:27] offset0:30 offset1:45
	v_add_f32_e32 v8, v25, v1
	v_add_f32_e32 v9, v16, v5
	v_fmac_f32_e32 v11, 0x3e9e377a, v28
	v_add_f32_e32 v12, v5, v6
	v_sub_f32_e32 v17, v4, v7
	v_add_f32_e32 v8, v8, v3
	v_add_f32_e32 v9, v9, v6
	ds_write_b64 v19, v[10:11] offset:480
	v_sub_f32_e32 v10, v4, v5
	v_sub_f32_e32 v11, v7, v6
	v_add_f32_e32 v15, v8, v0
	v_add_f32_e32 v8, v9, v7
	v_sub_f32_e32 v20, v5, v6
	v_add_f32_e32 v23, v4, v7
	v_sub_f32_e32 v5, v5, v4
	v_sub_f32_e32 v6, v6, v7
	v_mov_b32_e32 v7, 0xb4e9
	v_sub_f32_e32 v9, v1, v3
	v_sub_f32_e32 v18, v2, v0
	v_mul_u32_u24_e32 v21, 0x258, v32
	v_lshlrev_b32_sdwa v22, v103, v33 dst_sel:DWORD dst_unused:UNUSED_PAD src0_sel:DWORD src1_sel:WORD_0
	v_add_f32_e32 v5, v5, v6
	v_mul_u32_u24_sdwa v6, v65, v7 dst_sel:DWORD dst_unused:UNUSED_PAD src0_sel:WORD_0 src1_sel:DWORD
	v_add_f32_e32 v13, v3, v0
	v_add_f32_e32 v14, v10, v11
	v_fma_f32 v10, -0.5, v12, v24
	v_sub_f32_e32 v16, v1, v2
	v_sub_f32_e32 v19, v3, v0
	v_add_f32_e32 v18, v9, v18
	v_add_f32_e32 v9, v15, v2
	v_add3_u32 v15, 0, v21, v22
	v_fma_f32 v24, -0.5, v23, v24
	v_add_f32_e32 v21, v1, v2
	v_sub_f32_e32 v1, v3, v1
	v_lshrrev_b32_e32 v3, 16, v6
	v_sub_f32_e32 v0, v0, v2
	v_fmamk_f32 v4, v19, 0xbf737871, v24
	v_fmac_f32_e32 v24, 0x3f737871, v19
	v_mul_lo_u16 v2, 0xdb, v68
	v_sub_nc_u16 v6, v65, v3
	v_fma_f32 v11, -0.5, v13, v25
	v_fmac_f32_e32 v25, -0.5, v21
	v_fmac_f32_e32 v4, 0x3f167918, v16
	v_fmac_f32_e32 v24, 0xbf167918, v16
	v_add_f32_e32 v0, v1, v0
	v_lshrrev_b16 v111, 14, v2
	v_lshrrev_b16 v1, 1, v6
	v_fmac_f32_e32 v4, 0x3e9e377a, v5
	v_fmac_f32_e32 v24, 0x3e9e377a, v5
	v_fmamk_f32 v5, v20, 0x3f737871, v25
	v_fmac_f32_e32 v25, 0xbf737871, v20
	v_mul_lo_u16 v2, 0x4b, v111
	v_add_nc_u16 v1, v1, v3
	v_fmamk_f32 v12, v16, 0x3f737871, v10
	v_fmamk_f32 v13, v17, 0xbf737871, v11
	v_fmac_f32_e32 v5, 0xbf167918, v17
	v_fmac_f32_e32 v25, 0x3f167918, v17
	;; [unrolled: 1-line block ×4, first 2 shown]
	v_sub_nc_u16 v112, v56, v2
	v_lshrrev_b16 v105, 6, v1
	v_mov_b32_e32 v1, 9
	v_fmac_f32_e32 v12, 0x3f167918, v19
	v_fmac_f32_e32 v13, 0xbf167918, v20
	;; [unrolled: 1-line block ×6, first 2 shown]
	v_mul_lo_u16 v0, 0x4b, v105
	v_mul_u32_u24_sdwa v2, v112, v1 dst_sel:DWORD dst_unused:UNUSED_PAD src0_sel:BYTE_0 src1_sel:DWORD
	v_fmac_f32_e32 v12, 0x3e9e377a, v14
	v_fmac_f32_e32 v13, 0x3e9e377a, v18
	;; [unrolled: 1-line block ×4, first 2 shown]
	v_sub_nc_u16 v106, v65, v0
	v_lshlrev_b32_e32 v42, 3, v2
	v_add_nc_u32_e32 v0, 0xffffffb5, v52
	ds_write2_b64 v15, v[8:9], v[12:13] offset1:15
	ds_write2_b64 v15, v[4:5], v[24:25] offset0:30 offset1:45
	ds_write_b64 v15, v[10:11] offset:480
	s_waitcnt lgkmcnt(0)
	s_barrier
	v_mul_u32_u24_sdwa v1, v106, v1 dst_sel:DWORD dst_unused:UNUSED_PAD src0_sel:WORD_0 src1_sel:DWORD
	buffer_gl0_inv
	global_load_dwordx4 v[118:121], v42, s[12:13] offset:576
	v_cndmask_b32_e64 v117, v0, v52, s0
	v_mov_b32_e32 v44, 0
	v_lshlrev_b32_e32 v45, 3, v1
	v_lshl_add_u32 v104, v60, 3, 0
	v_mul_i32_i24_e32 v43, 9, v117
	global_load_dwordx4 v[122:125], v45, s[12:13] offset:576
	v_lshlrev_b64 v[0:1], 3, v[43:44]
	v_add_co_u32 v40, s0, s12, v0
	v_add_co_ci_u32_e64 v41, s0, s13, v1, s0
	s_clause 0xc
	global_load_dwordx4 v[0:3], v[40:41], off offset:576
	global_load_dwordx4 v[4:7], v[40:41], off offset:592
	global_load_dwordx4 v[8:11], v42, s[12:13] offset:592
	global_load_dwordx4 v[12:15], v45, s[12:13] offset:592
	global_load_dwordx4 v[16:19], v[40:41], off offset:608
	global_load_dwordx4 v[20:23], v42, s[12:13] offset:608
	global_load_dwordx4 v[24:27], v45, s[12:13] offset:608
	;; [unrolled: 3-line block ×3, first 2 shown]
	global_load_dwordx2 v[49:50], v[40:41], off offset:640
	global_load_dwordx2 v[47:48], v42, s[12:13] offset:640
	global_load_dwordx2 v[45:46], v45, s[12:13] offset:640
	ds_read2_b64 v[126:129], v67 offset0:116 offset1:241
	ds_read2_b64 v[130:133], v82 offset0:107 offset1:232
	ds_read_b64 v[72:73], v51
	ds_read_b64 v[70:71], v95
	ds_read2_b32 v[68:69], v104 offset1:1
	v_cmp_lt_u32_e64 s0, 0x4a, v52
	s_waitcnt vmcnt(14) lgkmcnt(4)
	v_mul_f32_e32 v40, v127, v119
	s_waitcnt lgkmcnt(3)
	v_mul_f32_e32 v41, v131, v121
	v_mul_f32_e32 v113, v126, v119
	;; [unrolled: 1-line block ×3, first 2 shown]
	v_fma_f32 v114, v126, v118, -v40
	v_fma_f32 v116, v130, v120, -v41
	ds_read2_b64 v[40:43], v66 offset0:92 offset1:217
	s_waitcnt vmcnt(13)
	v_mul_f32_e32 v67, v129, v123
	v_mul_f32_e32 v107, v128, v123
	v_mul_f32_e32 v110, v133, v125
	v_mul_f32_e32 v109, v132, v125
	v_fmac_f32_e32 v113, v127, v118
	v_fma_f32 v108, v128, v122, -v67
	ds_read_b64 v[66:67], v78
	v_fmac_f32_e32 v107, v129, v122
	s_waitcnt vmcnt(12) lgkmcnt(4)
	v_mul_f32_e32 v122, v1, v73
	v_mul_f32_e32 v126, v1, v72
	v_fmac_f32_e32 v115, v131, v120
	v_fma_f32 v110, v132, v124, -v110
	v_fmac_f32_e32 v109, v133, v124
	s_waitcnt lgkmcnt(3)
	v_mul_f32_e32 v1, v3, v71
	ds_read2_b64 v[118:121], v86 offset0:98 offset1:223
	v_mul_f32_e32 v86, v3, v70
	v_fma_f32 v127, v0, v72, -v122
	v_fmac_f32_e32 v126, v0, v73
	s_waitcnt vmcnt(11) lgkmcnt(3)
	v_mul_f32_e32 v0, v69, v5
	ds_read2_b64 v[122:125], v88 offset0:86 offset1:211
	v_fma_f32 v128, v2, v70, -v1
	v_fmac_f32_e32 v86, v2, v71
	s_waitcnt lgkmcnt(3)
	v_mul_f32_e32 v1, v41, v7
	v_mul_f32_e32 v129, v40, v7
	v_fma_f32 v130, v4, v68, -v0
	s_waitcnt vmcnt(10)
	v_mul_f32_e32 v0, v43, v11
	v_mul_f32_e32 v131, v42, v11
	ds_read2_b64 v[70:73], v92 offset0:74 offset1:199
	v_fma_f32 v92, v40, v6, -v1
	v_fmac_f32_e32 v129, v41, v6
	v_fma_f32 v132, v42, v10, -v0
	v_fmac_f32_e32 v131, v43, v10
	ds_read2_b64 v[40:43], v90 offset0:80 offset1:205
	v_mul_f32_e32 v88, v5, v68
	s_waitcnt lgkmcnt(3)
	v_mul_f32_e32 v1, v119, v9
	s_waitcnt vmcnt(9)
	v_mul_f32_e32 v2, v121, v13
	v_mul_f32_e32 v133, v118, v9
	;; [unrolled: 1-line block ×3, first 2 shown]
	v_fmac_f32_e32 v88, v69, v4
	s_waitcnt lgkmcnt(2)
	v_mul_f32_e32 v3, v123, v15
	v_fma_f32 v90, v118, v8, -v1
	v_fma_f32 v1, v120, v12, -v2
	v_mul_f32_e32 v4, v122, v15
	s_waitcnt vmcnt(8)
	v_mul_f32_e32 v2, v125, v17
	v_fma_f32 v5, v122, v14, -v3
	v_mul_f32_e32 v118, v124, v17
	v_fmac_f32_e32 v133, v119, v8
	s_waitcnt lgkmcnt(1)
	v_mul_f32_e32 v3, v71, v19
	v_fmac_f32_e32 v0, v121, v12
	ds_read2_b64 v[10:13], v84 offset0:68 offset1:193
	v_fmac_f32_e32 v4, v123, v14
	v_mul_f32_e32 v84, v70, v19
	v_fma_f32 v119, v124, v16, -v2
	v_fmac_f32_e32 v118, v125, v16
	v_fma_f32 v120, v70, v18, -v3
	s_waitcnt vmcnt(7) lgkmcnt(1)
	v_mul_f32_e32 v3, v41, v21
	ds_read2_b64 v[14:17], v87 offset0:56 offset1:181
	v_mul_f32_e32 v87, v40, v21
	v_mul_f32_e32 v2, v73, v23
	v_fmac_f32_e32 v84, v71, v18
	v_fma_f32 v40, v40, v20, -v3
	v_mul_f32_e32 v121, v72, v23
	v_fmac_f32_e32 v87, v41, v20
	ds_read2_b64 v[18:21], v89 offset0:50 offset1:175
	v_fma_f32 v72, v72, v22, -v2
	s_waitcnt vmcnt(6)
	v_mul_f32_e32 v6, v43, v25
	ds_read2_b64 v[68:71], v85 offset0:62 offset1:187
	v_mul_f32_e32 v2, v42, v25
	v_fmac_f32_e32 v121, v73, v22
	s_waitcnt lgkmcnt(3)
	v_mul_f32_e32 v7, v10, v27
	v_fma_f32 v3, v42, v24, -v6
	v_mul_f32_e32 v6, v11, v27
	v_fmac_f32_e32 v2, v43, v24
	ds_read2_b64 v[22:25], v91 offset0:44 offset1:169
	s_waitcnt vmcnt(5)
	v_mul_f32_e32 v8, v13, v29
	v_mul_f32_e32 v27, v12, v29
	v_fma_f32 v10, v10, v26, -v6
	s_waitcnt lgkmcnt(3)
	v_mul_f32_e32 v6, v15, v31
	v_fmac_f32_e32 v7, v11, v26
	v_fma_f32 v26, v12, v28, -v8
	v_fmac_f32_e32 v27, v13, v28
	v_mul_f32_e32 v28, v14, v31
	s_waitcnt vmcnt(4)
	v_mul_f32_e32 v8, v17, v35
	s_waitcnt vmcnt(3) lgkmcnt(2)
	v_mul_f32_e32 v9, v19, v39
	v_fma_f32 v29, v14, v30, -v6
	v_mul_f32_e32 v12, v18, v39
	s_waitcnt lgkmcnt(1)
	v_mul_f32_e32 v6, v69, v33
	v_fmac_f32_e32 v28, v15, v30
	v_fma_f32 v13, v18, v38, -v9
	s_waitcnt vmcnt(2)
	v_mul_f32_e32 v18, v20, v50
	v_fma_f32 v41, v16, v34, -v8
	v_fma_f32 v42, v68, v32, -v6
	v_mul_f32_e32 v8, v71, v37
	v_mul_f32_e32 v6, v70, v37
	;; [unrolled: 1-line block ×3, first 2 shown]
	s_waitcnt vmcnt(1) lgkmcnt(0)
	v_mul_f32_e32 v11, v23, v48
	s_waitcnt vmcnt(0)
	v_mul_f32_e32 v14, v25, v46
	v_fmac_f32_e32 v18, v21, v49
	v_add_f32_e32 v15, v119, v26
	v_mul_f32_e32 v35, v16, v35
	v_fma_f32 v8, v70, v36, -v8
	v_fmac_f32_e32 v6, v71, v36
	v_fmac_f32_e32 v12, v19, v38
	v_mul_f32_e32 v36, v22, v48
	v_fma_f32 v19, v20, v49, -v9
	v_fma_f32 v37, v22, v47, -v11
	;; [unrolled: 1-line block ×3, first 2 shown]
	v_add_f32_e32 v14, v118, v27
	v_fma_f32 v20, -0.5, v15, v127
	v_sub_f32_e32 v22, v88, v18
	v_fmac_f32_e32 v35, v17, v34
	v_mul_f32_e32 v34, v68, v33
	v_fmac_f32_e32 v36, v23, v47
	v_mul_f32_e32 v9, v24, v46
	v_sub_f32_e32 v16, v130, v119
	v_sub_f32_e32 v17, v19, v26
	v_fma_f32 v23, -0.5, v14, v126
	v_sub_f32_e32 v24, v130, v19
	v_fmamk_f32 v30, v22, 0x3f737871, v20
	ds_read_b64 v[14:15], v74
	v_fmac_f32_e32 v20, 0xbf737871, v22
	v_sub_f32_e32 v31, v118, v27
	v_fmac_f32_e32 v34, v69, v32
	v_add_f32_e32 v21, v16, v17
	v_sub_f32_e32 v16, v88, v118
	v_sub_f32_e32 v17, v18, v27
	v_fmamk_f32 v32, v24, 0xbf737871, v23
	v_fmac_f32_e32 v23, 0x3f737871, v24
	v_sub_f32_e32 v33, v119, v26
	v_fmac_f32_e32 v20, 0xbf167918, v31
	v_add_f32_e32 v38, v16, v17
	ds_read_b64 v[16:17], v79
	v_fmac_f32_e32 v9, v25, v45
	v_fmac_f32_e32 v23, 0x3f167918, v33
	;; [unrolled: 1-line block ×3, first 2 shown]
	v_sub_f32_e32 v25, v128, v92
	v_sub_f32_e32 v39, v29, v120
	;; [unrolled: 1-line block ×3, first 2 shown]
	v_add_f32_e32 v45, v92, v120
	v_sub_f32_e32 v46, v28, v84
	v_fmac_f32_e32 v23, 0x3e9e377a, v38
	v_mul_f32_e32 v47, 0x3f4f1bbd, v20
	v_sub_f32_e32 v48, v86, v28
	s_waitcnt lgkmcnt(1)
	v_fma_f32 v45, -0.5, v45, v14
	v_add_f32_e32 v25, v25, v39
	v_add_f32_e32 v39, v43, v46
	v_fma_f32 v43, 0x3f167918, v23, -v47
	v_mul_f32_e32 v23, 0x3f4f1bbd, v23
	v_add_f32_e32 v50, v14, v128
	v_fmamk_f32 v46, v48, 0x3f737871, v45
	v_fmac_f32_e32 v45, 0xbf737871, v48
	v_sub_f32_e32 v47, v129, v84
	v_lshlrev_b32_e32 v49, 3, v117
	v_cndmask_b32_e64 v68, 0, 0x1770, s0
	v_fma_f32 v69, 0xbf167918, v20, -v23
	v_add_f32_e32 v20, v50, v92
	v_add_f32_e32 v23, v15, v86
	;; [unrolled: 1-line block ×3, first 2 shown]
	v_fmac_f32_e32 v45, 0xbf167918, v47
	v_fmac_f32_e32 v46, 0x3f167918, v47
	v_add3_u32 v49, 0, v68, v49
	v_sub_f32_e32 v68, v92, v128
	v_add_f32_e32 v23, v23, v129
	v_sub_f32_e32 v70, v120, v29
	v_sub_f32_e32 v71, v128, v29
	v_fma_f32 v50, -0.5, v50, v15
	v_fmac_f32_e32 v45, 0x3e9e377a, v25
	v_fmac_f32_e32 v46, 0x3e9e377a, v25
	v_sub_f32_e32 v25, v92, v120
	v_add_f32_e32 v23, v23, v84
	v_add_f32_e32 v68, v68, v70
	v_fmamk_f32 v70, v71, 0xbf737871, v50
	v_fmac_f32_e32 v50, 0x3f737871, v71
	v_sub_f32_e32 v73, v129, v86
	v_add_f32_e32 v85, v86, v28
	v_add_f32_e32 v86, v127, v130
	;; [unrolled: 1-line block ×3, first 2 shown]
	v_fmac_f32_e32 v50, 0x3f167918, v25
	v_fmac_f32_e32 v70, 0xbf167918, v25
	v_sub_f32_e32 v28, v84, v28
	v_fmac_f32_e32 v30, 0x3f167918, v31
	v_add_f32_e32 v84, v86, v119
	v_fmac_f32_e32 v50, 0x3e9e377a, v39
	v_fmac_f32_e32 v70, 0x3e9e377a, v39
	v_add_f32_e32 v39, v88, v18
	v_fmac_f32_e32 v30, 0x3e9e377a, v21
	v_add_f32_e32 v21, v84, v26
	v_add_f32_e32 v84, v130, v19
	;; [unrolled: 1-line block ×3, first 2 shown]
	v_fmac_f32_e32 v15, -0.5, v85
	v_add_f32_e32 v85, v126, v88
	v_fmac_f32_e32 v126, -0.5, v39
	v_fmac_f32_e32 v127, -0.5, v84
	v_fmac_f32_e32 v32, 0xbf167918, v33
	v_add_f32_e32 v20, v20, v29
	v_add_f32_e32 v29, v128, v29
	v_sub_f32_e32 v86, v119, v130
	v_sub_f32_e32 v26, v26, v19
	v_add_f32_e32 v39, v85, v118
	v_sub_f32_e32 v84, v118, v88
	v_sub_f32_e32 v85, v27, v18
	v_fmamk_f32 v88, v33, 0x3f737871, v126
	v_fmamk_f32 v89, v31, 0xbf737871, v127
	v_fmac_f32_e32 v32, 0x3e9e377a, v38
	v_fmac_f32_e32 v127, 0x3f737871, v31
	;; [unrolled: 1-line block ×3, first 2 shown]
	v_add_f32_e32 v26, v86, v26
	v_add_f32_e32 v84, v84, v85
	v_fmac_f32_e32 v88, 0xbf167918, v24
	v_fmac_f32_e32 v89, 0x3f167918, v22
	v_mul_f32_e32 v38, 0x3f167918, v32
	v_fma_f32 v14, -0.5, v29, v14
	v_fmac_f32_e32 v127, 0xbf167918, v22
	v_fmac_f32_e32 v126, 0x3f167918, v24
	v_add_f32_e32 v27, v39, v27
	v_fmac_f32_e32 v88, 0x3e9e377a, v84
	v_fmac_f32_e32 v89, 0x3e9e377a, v26
	v_mul_f32_e32 v39, 0xbf167918, v30
	v_fmac_f32_e32 v38, 0x3f4f1bbd, v30
	v_fmamk_f32 v30, v47, 0xbf737871, v14
	v_fmamk_f32 v31, v25, 0x3f737871, v15
	v_fmac_f32_e32 v14, 0x3f737871, v47
	v_fmac_f32_e32 v15, 0xbf737871, v25
	;; [unrolled: 1-line block ×4, first 2 shown]
	v_mul_f32_e32 v85, 0x3f737871, v88
	v_mul_f32_e32 v86, 0xbf737871, v89
	v_add_f32_e32 v28, v73, v28
	v_fmac_f32_e32 v30, 0x3f167918, v48
	v_fmac_f32_e32 v31, 0xbf167918, v71
	;; [unrolled: 1-line block ×4, first 2 shown]
	v_mul_f32_e32 v26, 0x3e9e377a, v127
	v_mul_f32_e32 v29, 0x3e9e377a, v126
	v_add_f32_e32 v21, v21, v19
	v_add_f32_e32 v27, v27, v18
	v_fmac_f32_e32 v39, 0x3f4f1bbd, v32
	v_fmac_f32_e32 v85, 0x3e9e377a, v89
	;; [unrolled: 1-line block ×7, first 2 shown]
	v_fma_f32 v48, 0x3f737871, v126, -v26
	v_fma_f32 v68, 0xbf737871, v127, -v29
	v_sub_f32_e32 v18, v20, v21
	v_sub_f32_e32 v19, v23, v27
	v_add_f32_e32 v20, v20, v21
	v_add_f32_e32 v21, v23, v27
	;; [unrolled: 1-line block ×4, first 2 shown]
	v_add_nc_u32_e32 v47, 0x800, v49
	v_sub_f32_e32 v24, v46, v38
	v_sub_f32_e32 v25, v70, v39
	;; [unrolled: 1-line block ×4, first 2 shown]
	v_add_nc_u32_e32 v71, 0xc00, v49
	v_add_f32_e32 v28, v46, v38
	v_add_f32_e32 v29, v70, v39
	;; [unrolled: 1-line block ×6, first 2 shown]
	s_waitcnt lgkmcnt(0)
	s_barrier
	buffer_gl0_inv
	ds_write2_b64 v47, v[22:23], v[18:19] offset0:44 offset1:119
	ds_write2_b64 v71, v[24:25], v[26:27] offset0:66 offset1:141
	ds_write2_b64 v49, v[20:21], v[28:29] offset1:75
	ds_write2_b64 v49, v[30:31], v[32:33] offset0:150 offset1:225
	v_add_f32_e32 v20, v40, v42
	v_add_f32_e32 v24, v87, v34
	v_sub_f32_e32 v25, v133, v36
	v_sub_f32_e32 v15, v15, v68
	;; [unrolled: 1-line block ×3, first 2 shown]
	v_fma_f32 v20, -0.5, v20, v114
	v_sub_f32_e32 v18, v45, v43
	v_sub_f32_e32 v19, v50, v69
	;; [unrolled: 1-line block ×4, first 2 shown]
	v_add_nc_u32_e32 v23, 0x1000, v49
	v_fma_f32 v24, -0.5, v24, v113
	v_sub_f32_e32 v26, v90, v37
	v_fmamk_f32 v27, v25, 0x3f737871, v20
	v_fmac_f32_e32 v20, 0xbf737871, v25
	v_sub_f32_e32 v28, v87, v34
	v_add_f32_e32 v21, v21, v22
	v_sub_f32_e32 v22, v133, v87
	v_sub_f32_e32 v29, v36, v34
	v_fmamk_f32 v30, v26, 0xbf737871, v24
	v_fmac_f32_e32 v24, 0x3f737871, v26
	v_sub_f32_e32 v31, v40, v42
	v_fmac_f32_e32 v20, 0xbf167918, v28
	ds_write2_b64 v23, v[14:15], v[18:19] offset0:88 offset1:163
	v_sub_f32_e32 v14, v116, v132
	v_sub_f32_e32 v15, v41, v72
	v_add_f32_e32 v22, v22, v29
	v_fmac_f32_e32 v24, 0x3f167918, v31
	v_fmac_f32_e32 v20, 0x3e9e377a, v21
	v_add_f32_e32 v29, v16, v116
	v_add_f32_e32 v32, v14, v15
	;; [unrolled: 1-line block ×3, first 2 shown]
	v_sub_f32_e32 v18, v115, v131
	v_sub_f32_e32 v19, v35, v121
	v_fmac_f32_e32 v24, 0x3e9e377a, v22
	v_mul_f32_e32 v23, 0x3f4f1bbd, v20
	v_mov_b32_e32 v38, 0x1770
	v_add_f32_e32 v14, v29, v132
	v_fma_f32 v43, -0.5, v15, v16
	v_sub_f32_e32 v29, v115, v35
	v_add_f32_e32 v33, v18, v19
	v_fma_f32 v39, 0x3f167918, v24, -v23
	v_mul_f32_e32 v18, 0x3f4f1bbd, v24
	v_mul_u32_u24_sdwa v19, v111, v38 dst_sel:DWORD dst_unused:UNUSED_PAD src0_sel:WORD_0 src1_sel:DWORD
	v_lshlrev_b32_sdwa v23, v103, v112 dst_sel:DWORD dst_unused:UNUSED_PAD src0_sel:DWORD src1_sel:BYTE_0
	v_fmamk_f32 v47, v29, 0x3f737871, v43
	v_fmac_f32_e32 v43, 0xbf737871, v29
	v_sub_f32_e32 v50, v131, v121
	v_add_f32_e32 v14, v14, v72
	v_add_f32_e32 v15, v131, v121
	v_fma_f32 v45, 0xbf167918, v20, -v18
	v_add3_u32 v46, 0, v19, v23
	v_fmac_f32_e32 v43, 0xbf167918, v50
	v_fmac_f32_e32 v47, 0x3f167918, v50
	v_sub_f32_e32 v20, v132, v116
	v_sub_f32_e32 v23, v72, v41
	v_add_f32_e32 v24, v14, v41
	v_fma_f32 v48, -0.5, v15, v17
	v_sub_f32_e32 v49, v116, v41
	v_add_f32_e32 v15, v114, v90
	v_fmac_f32_e32 v43, 0x3e9e377a, v32
	v_fmac_f32_e32 v47, 0x3e9e377a, v32
	v_add_f32_e32 v32, v116, v41
	v_add_f32_e32 v41, v20, v23
	;; [unrolled: 1-line block ×3, first 2 shown]
	v_fmac_f32_e32 v27, 0x3f167918, v28
	v_add_f32_e32 v14, v17, v115
	v_fmamk_f32 v68, v49, 0xbf737871, v48
	v_add_f32_e32 v18, v113, v133
	v_fmac_f32_e32 v48, 0x3f737871, v49
	v_sub_f32_e32 v69, v132, v72
	v_add_f32_e32 v15, v15, v40
	v_fmac_f32_e32 v17, -0.5, v20
	v_fmac_f32_e32 v27, 0x3e9e377a, v21
	v_add_f32_e32 v20, v133, v36
	v_add_f32_e32 v21, v90, v37
	;; [unrolled: 1-line block ×4, first 2 shown]
	v_fmac_f32_e32 v48, 0x3f167918, v69
	v_add_f32_e32 v15, v15, v42
	v_fmac_f32_e32 v68, 0xbf167918, v69
	v_fmac_f32_e32 v30, 0xbf167918, v31
	v_fmac_f32_e32 v113, -0.5, v20
	v_fmac_f32_e32 v114, -0.5, v21
	v_add_f32_e32 v14, v14, v121
	v_add_f32_e32 v18, v18, v34
	v_fmac_f32_e32 v48, 0x3e9e377a, v33
	v_add_f32_e32 v70, v15, v37
	v_fmac_f32_e32 v68, 0x3e9e377a, v33
	v_sub_f32_e32 v33, v40, v90
	v_sub_f32_e32 v37, v42, v37
	;; [unrolled: 1-line block ×4, first 2 shown]
	v_fmac_f32_e32 v30, 0x3e9e377a, v22
	v_fmamk_f32 v22, v31, 0x3f737871, v113
	v_fmamk_f32 v34, v28, 0xbf737871, v114
	v_fmac_f32_e32 v114, 0x3f737871, v28
	v_fmac_f32_e32 v113, 0xbf737871, v31
	v_add_f32_e32 v71, v14, v35
	v_add_f32_e32 v73, v18, v36
	v_sub_f32_e32 v23, v131, v115
	v_sub_f32_e32 v35, v121, v35
	v_add_f32_e32 v33, v33, v37
	v_add_f32_e32 v36, v20, v21
	v_fmac_f32_e32 v22, 0xbf167918, v26
	v_fmac_f32_e32 v34, 0x3f167918, v25
	v_fma_f32 v16, -0.5, v32, v16
	v_fmac_f32_e32 v114, 0xbf167918, v25
	v_fmac_f32_e32 v113, 0x3f167918, v26
	v_mul_f32_e32 v37, 0x3f167918, v30
	v_add_f32_e32 v32, v23, v35
	v_fmac_f32_e32 v22, 0x3e9e377a, v36
	v_fmac_f32_e32 v34, 0x3e9e377a, v33
	v_fmamk_f32 v35, v50, 0xbf737871, v16
	v_fmamk_f32 v40, v69, 0x3f737871, v17
	v_fmac_f32_e32 v16, 0x3f737871, v50
	v_fmac_f32_e32 v17, 0xbf737871, v69
	;; [unrolled: 1-line block ×5, first 2 shown]
	v_mul_f32_e32 v27, 0xbf167918, v27
	v_mul_f32_e32 v42, 0x3f737871, v22
	;; [unrolled: 1-line block ×3, first 2 shown]
	v_fmac_f32_e32 v35, 0x3f167918, v29
	v_fmac_f32_e32 v40, 0xbf167918, v49
	;; [unrolled: 1-line block ×4, first 2 shown]
	v_mul_f32_e32 v28, 0x3e9e377a, v114
	v_mul_f32_e32 v29, 0x3e9e377a, v113
	v_fmac_f32_e32 v27, 0x3f4f1bbd, v30
	v_fmac_f32_e32 v42, 0x3e9e377a, v34
	;; [unrolled: 1-line block ×7, first 2 shown]
	v_fma_f32 v32, 0x3f737871, v113, -v28
	v_fma_f32 v33, 0xbf737871, v114, -v29
	v_add_f32_e32 v14, v43, v39
	v_add_f32_e32 v15, v48, v45
	v_sub_f32_e32 v18, v24, v70
	v_sub_f32_e32 v19, v71, v73
	v_add_nc_u32_e32 v72, 0x800, v46
	v_sub_f32_e32 v20, v47, v37
	v_sub_f32_e32 v21, v68, v27
	;; [unrolled: 1-line block ×4, first 2 shown]
	v_add_nc_u32_e32 v34, 0xc00, v46
	v_add_f32_e32 v24, v24, v70
	v_add_f32_e32 v25, v71, v73
	v_add_f32_e32 v26, v47, v37
	v_add_f32_e32 v27, v68, v27
	v_add_f32_e32 v28, v35, v42
	v_add_f32_e32 v29, v40, v84
	v_add_f32_e32 v30, v16, v32
	v_add_f32_e32 v31, v17, v33
	v_sub_f32_e32 v17, v17, v33
	v_sub_f32_e32 v16, v16, v32
	;; [unrolled: 1-line block ×4, first 2 shown]
	v_add_nc_u32_e32 v35, 0x1000, v46
	ds_write2_b64 v72, v[14:15], v[18:19] offset0:44 offset1:119
	ds_write2_b64 v34, v[20:21], v[22:23] offset0:66 offset1:141
	ds_write2_b64 v46, v[24:25], v[26:27] offset1:75
	ds_write2_b64 v46, v[28:29], v[30:31] offset0:150 offset1:225
	ds_write2_b64 v35, v[16:17], v[32:33] offset0:88 offset1:163
	v_add_f32_e32 v17, v2, v6
	v_add_f32_e32 v14, v3, v8
	v_sub_f32_e32 v23, v1, v11
	v_sub_f32_e32 v22, v0, v9
	;; [unrolled: 1-line block ×3, first 2 shown]
	v_fma_f32 v17, -0.5, v17, v107
	v_fma_f32 v14, -0.5, v14, v108
	v_sub_f32_e32 v20, v9, v6
	v_sub_f32_e32 v26, v3, v8
	;; [unrolled: 1-line block ×3, first 2 shown]
	v_fmamk_f32 v25, v23, 0xbf737871, v17
	v_fmac_f32_e32 v17, 0x3f737871, v23
	v_sub_f32_e32 v16, v1, v3
	v_sub_f32_e32 v18, v11, v8
	v_fmamk_f32 v21, v22, 0x3f737871, v14
	v_fmac_f32_e32 v14, 0xbf737871, v22
	v_sub_f32_e32 v24, v2, v6
	v_sub_f32_e32 v27, v13, v10
	v_add_f32_e32 v19, v19, v20
	v_fmac_f32_e32 v17, 0x3f167918, v26
	v_add_f32_e32 v18, v16, v18
	v_fmac_f32_e32 v14, 0xbf167918, v24
	v_add_f32_e32 v27, v15, v27
	v_add_f32_e32 v15, v66, v110
	v_fmac_f32_e32 v17, 0x3e9e377a, v19
	v_sub_f32_e32 v16, v109, v4
	v_fmac_f32_e32 v14, 0x3e9e377a, v18
	v_sub_f32_e32 v20, v12, v7
	v_add_f32_e32 v15, v15, v5
	v_mul_f32_e32 v29, 0x3f4f1bbd, v17
	v_add_f32_e32 v30, v5, v10
	v_mul_f32_e32 v28, 0x3f4f1bbd, v14
	v_sub_f32_e32 v36, v110, v13
	v_add_f32_e32 v20, v16, v20
	v_fma_f32 v29, 0xbf167918, v14, -v29
	v_add_f32_e32 v14, v15, v10
	v_add_f32_e32 v15, v4, v7
	v_mul_u32_u24_sdwa v16, v105, v38 dst_sel:DWORD dst_unused:UNUSED_PAD src0_sel:WORD_0 src1_sel:DWORD
	v_fma_f32 v30, -0.5, v30, v66
	v_sub_f32_e32 v32, v109, v12
	v_sub_f32_e32 v39, v5, v10
	v_fma_f32 v35, -0.5, v15, v67
	v_sub_f32_e32 v37, v4, v7
	v_add_f32_e32 v33, v14, v13
	v_fmamk_f32 v34, v32, 0x3f737871, v30
	v_fmac_f32_e32 v30, 0xbf737871, v32
	v_fmamk_f32 v38, v36, 0xbf737871, v35
	v_fmac_f32_e32 v35, 0x3f737871, v36
	v_add_f32_e32 v14, v67, v109
	v_fmac_f32_e32 v34, 0x3f167918, v37
	v_fmac_f32_e32 v30, 0xbf167918, v37
	;; [unrolled: 1-line block ×4, first 2 shown]
	v_add_f32_e32 v14, v14, v4
	v_fmac_f32_e32 v34, 0x3e9e377a, v27
	v_fmac_f32_e32 v30, 0x3e9e377a, v27
	;; [unrolled: 1-line block ×4, first 2 shown]
	v_add_f32_e32 v20, v110, v13
	v_sub_f32_e32 v5, v5, v110
	v_sub_f32_e32 v10, v10, v13
	v_lshlrev_b32_sdwa v31, v103, v106 dst_sel:DWORD dst_unused:UNUSED_PAD src0_sel:DWORD src1_sel:WORD_0
	v_add_f32_e32 v14, v14, v7
	v_fma_f32 v27, -0.5, v20, v66
	v_add_f32_e32 v15, v108, v1
	v_add_f32_e32 v5, v5, v10
	v_add3_u32 v31, 0, v16, v31
	v_add_f32_e32 v16, v107, v0
	v_fmamk_f32 v13, v37, 0xbf737871, v27
	v_fmac_f32_e32 v27, 0x3f737871, v37
	v_add_f32_e32 v40, v14, v12
	v_add_f32_e32 v10, v109, v12
	v_sub_f32_e32 v7, v7, v12
	v_fmac_f32_e32 v13, 0x3f167918, v32
	v_fmac_f32_e32 v27, 0xbf167918, v32
	v_add_f32_e32 v12, v1, v11
	v_fmac_f32_e32 v25, 0xbf167918, v26
	v_fmac_f32_e32 v21, 0x3f167918, v24
	;; [unrolled: 1-line block ×4, first 2 shown]
	v_add_f32_e32 v5, v0, v9
	v_add_f32_e32 v15, v15, v3
	;; [unrolled: 1-line block ×3, first 2 shown]
	v_fmac_f32_e32 v108, -0.5, v12
	v_fmac_f32_e32 v25, 0x3e9e377a, v19
	v_fmac_f32_e32 v107, -0.5, v5
	v_fmac_f32_e32 v21, 0x3e9e377a, v18
	v_add_f32_e32 v15, v15, v8
	v_add_f32_e32 v16, v16, v6
	v_sub_f32_e32 v1, v3, v1
	v_sub_f32_e32 v3, v8, v11
	v_fmamk_f32 v5, v24, 0xbf737871, v108
	v_fmac_f32_e32 v108, 0x3f737871, v24
	v_sub_f32_e32 v0, v2, v0
	v_sub_f32_e32 v2, v6, v9
	v_fmamk_f32 v6, v26, 0x3f737871, v107
	v_fmac_f32_e32 v107, 0xbf737871, v26
	v_mul_f32_e32 v45, 0x3f167918, v25
	v_mul_f32_e32 v46, 0xbf167918, v21
	v_fma_f32 v28, 0x3f167918, v17, -v28
	v_add_f32_e32 v41, v15, v11
	v_add_f32_e32 v42, v16, v9
	v_sub_f32_e32 v4, v4, v109
	v_fmac_f32_e32 v67, -0.5, v10
	v_add_f32_e32 v1, v1, v3
	v_add_f32_e32 v0, v0, v2
	v_fmac_f32_e32 v6, 0xbf167918, v23
	v_fmac_f32_e32 v5, 0x3f167918, v22
	;; [unrolled: 1-line block ×6, first 2 shown]
	v_add_f32_e32 v14, v30, v28
	v_add_f32_e32 v15, v35, v29
	v_sub_f32_e32 v16, v33, v41
	v_sub_f32_e32 v17, v40, v42
	v_add_nc_u32_e32 v43, 0x800, v31
	v_add_f32_e32 v4, v4, v7
	v_fmamk_f32 v7, v39, 0x3f737871, v67
	v_fmac_f32_e32 v67, 0xbf737871, v39
	v_fmac_f32_e32 v6, 0x3e9e377a, v0
	;; [unrolled: 1-line block ×5, first 2 shown]
	v_add_f32_e32 v18, v33, v41
	v_add_f32_e32 v19, v40, v42
	;; [unrolled: 1-line block ×4, first 2 shown]
	ds_write2_b64 v43, v[14:15], v[16:17] offset0:44 offset1:119
	ds_write2_b64 v31, v[18:19], v[20:21] offset1:75
	v_fmac_f32_e32 v7, 0xbf167918, v36
	v_fmac_f32_e32 v67, 0x3f167918, v36
	v_mul_f32_e32 v8, 0x3f737871, v6
	v_mul_f32_e32 v9, 0xbf737871, v5
	;; [unrolled: 1-line block ×4, first 2 shown]
	v_lshlrev_b32_e32 v43, 2, v52
	v_fmac_f32_e32 v7, 0x3e9e377a, v4
	v_fmac_f32_e32 v67, 0x3e9e377a, v4
	;; [unrolled: 1-line block ×4, first 2 shown]
	v_fma_f32 v10, 0x3f737871, v107, -v0
	v_fma_f32 v11, 0xbf737871, v108, -v1
	v_lshlrev_b64 v[24:25], 3, v[43:44]
	v_lshlrev_b32_e32 v43, 2, v56
	v_add_f32_e32 v2, v13, v8
	v_add_f32_e32 v3, v7, v9
	v_sub_f32_e32 v4, v13, v8
	v_sub_f32_e32 v5, v7, v9
	v_add_f32_e32 v6, v27, v10
	v_add_f32_e32 v7, v67, v11
	v_sub_f32_e32 v8, v27, v10
	v_sub_f32_e32 v9, v67, v11
	v_lshlrev_b64 v[10:11], 3, v[43:44]
	v_lshlrev_b32_e32 v43, 2, v65
	v_sub_f32_e32 v0, v34, v45
	v_sub_f32_e32 v1, v38, v46
	v_add_nc_u32_e32 v14, 0xc00, v31
	ds_write2_b64 v31, v[2:3], v[6:7] offset0:150 offset1:225
	ds_write2_b64 v14, v[0:1], v[4:5] offset0:66 offset1:141
	v_add_co_u32 v10, s0, s12, v10
	v_add_co_ci_u32_e64 v11, s0, s13, v11, s0
	v_lshlrev_b64 v[2:3], 3, v[43:44]
	v_sub_f32_e32 v12, v30, v28
	v_sub_f32_e32 v13, v35, v29
	v_add_nc_u32_e32 v4, 0x1000, v31
	v_add_co_u32 v0, s0, 0x1000, v10
	v_add_co_ci_u32_e64 v1, s0, 0, v11, s0
	ds_write2_b64 v4, v[8:9], v[12:13] offset0:88 offset1:163
	v_add_co_u32 v12, s0, s12, v2
	v_add_co_ci_u32_e64 v13, s0, s13, v3, s0
	s_waitcnt lgkmcnt(0)
	v_add_co_u32 v4, s0, 0x1000, v12
	s_barrier
	buffer_gl0_inv
	global_load_dwordx4 v[0:3], v[0:1], off offset:1880
	v_add_co_ci_u32_e64 v5, s0, 0, v13, s0
	v_add_co_u32 v8, s0, 0x1758, v10
	v_lshlrev_b32_e32 v43, 2, v64
	global_load_dwordx4 v[4:7], v[4:5], off offset:1880
	v_add_co_ci_u32_e64 v9, s0, 0, v11, s0
	v_add_co_u32 v12, s0, 0x1758, v12
	v_lshlrev_b64 v[16:17], 3, v[43:44]
	v_add_co_ci_u32_e64 v13, s0, 0, v13, s0
	global_load_dwordx4 v[8:11], v[8:9], off offset:16
	v_lshlrev_b32_e32 v43, 2, v63
	global_load_dwordx4 v[12:15], v[12:13], off offset:16
	v_add_co_u32 v26, s0, s12, v16
	v_add_co_ci_u32_e64 v27, s0, s13, v17, s0
	v_lshlrev_b64 v[16:17], 3, v[43:44]
	v_add_co_u32 v18, s0, 0x1000, v26
	v_add_co_ci_u32_e64 v19, s0, 0, v27, s0
	v_lshlrev_b32_e32 v43, 2, v62
	v_add_co_u32 v28, s0, s12, v16
	v_add_co_ci_u32_e64 v29, s0, s13, v17, s0
	global_load_dwordx4 v[16:19], v[18:19], off offset:1880
	v_add_co_u32 v20, s0, 0x1000, v28
	v_add_co_ci_u32_e64 v21, s0, 0, v29, s0
	v_add_co_u32 v26, s0, 0x1758, v26
	v_add_co_ci_u32_e64 v27, s0, 0, v27, s0
	global_load_dwordx4 v[20:23], v[20:21], off offset:1880
	v_add_co_u32 v28, s0, 0x1758, v28
	v_add_co_ci_u32_e64 v29, s0, 0, v29, s0
	s_clause 0x1
	global_load_dwordx4 v[68:71], v[26:27], off offset:16
	global_load_dwordx4 v[84:87], v[28:29], off offset:16
	v_add_co_u32 v28, s0, s12, v24
	v_add_co_ci_u32_e64 v29, s0, s13, v25, s0
	v_lshlrev_b64 v[24:25], 3, v[43:44]
	v_add_co_u32 v26, s0, 0x1000, v28
	v_add_co_ci_u32_e64 v27, s0, 0, v29, s0
	v_add_co_u32 v30, s0, s12, v24
	v_add_co_ci_u32_e64 v31, s0, s13, v25, s0
	global_load_dwordx4 v[88:91], v[26:27], off offset:1880
	v_add_co_u32 v24, s0, 0x1000, v30
	v_add_co_ci_u32_e64 v25, s0, 0, v31, s0
	global_load_dwordx4 v[105:108], v[24:25], off offset:1880
	;; [unrolled: 3-line block ×4, first 2 shown]
	ds_read2_b64 v[24:27], v82 offset0:107 offset1:232
	ds_read2_b64 v[28:31], v83 offset0:89 offset1:214
	;; [unrolled: 1-line block ×4, first 2 shown]
	s_waitcnt vmcnt(11) lgkmcnt(3)
	v_mul_f32_e32 v36, v25, v1
	v_mul_f32_e32 v45, v24, v1
	s_waitcnt lgkmcnt(2)
	v_mul_f32_e32 v1, v29, v3
	v_mul_f32_e32 v46, v28, v3
	v_fma_f32 v47, v24, v0, -v36
	s_waitcnt vmcnt(10)
	v_mul_f32_e32 v3, v27, v5
	v_mul_f32_e32 v36, v26, v5
	v_fmac_f32_e32 v45, v25, v0
	v_fma_f32 v48, v28, v2, -v1
	v_fmac_f32_e32 v46, v29, v2
	v_fma_f32 v38, v26, v4, -v3
	v_fmac_f32_e32 v36, v27, v4
	v_mul_f32_e32 v4, v31, v7
	v_mul_f32_e32 v37, v30, v7
	ds_read2_b64 v[0:3], v100 offset0:101 offset1:226
	s_waitcnt vmcnt(9) lgkmcnt(2)
	v_mul_f32_e32 v5, v33, v9
	ds_read2_b64 v[99:102], v99 offset0:83 offset1:208
	v_fma_f32 v39, v30, v6, -v4
	v_fmac_f32_e32 v37, v31, v6
	s_waitcnt lgkmcnt(2)
	v_mul_f32_e32 v4, v118, v11
	v_fma_f32 v50, v32, v8, -v5
	s_waitcnt vmcnt(8)
	v_mul_f32_e32 v5, v35, v13
	v_mul_f32_e32 v6, v120, v15
	;; [unrolled: 1-line block ×4, first 2 shown]
	v_fma_f32 v67, v117, v10, -v4
	v_fma_f32 v42, v34, v12, -v5
	;; [unrolled: 1-line block ×3, first 2 shown]
	ds_read2_b64 v[4:7], v98 offset0:65 offset1:190
	v_fmac_f32_e32 v49, v33, v8
	v_mul_f32_e32 v40, v34, v13
	v_fmac_f32_e32 v66, v118, v10
	ds_read2_b64 v[8:11], v97 offset0:47 offset1:172
	v_mul_f32_e32 v41, v119, v15
	s_waitcnt vmcnt(7) lgkmcnt(3)
	v_mul_f32_e32 v27, v0, v17
	v_fmac_f32_e32 v40, v35, v12
	v_mul_f32_e32 v12, v1, v17
	s_waitcnt lgkmcnt(2)
	v_mul_f32_e32 v13, v100, v19
	v_mul_f32_e32 v29, v99, v19
	v_fmac_f32_e32 v27, v1, v16
	s_waitcnt vmcnt(6)
	v_mul_f32_e32 v1, v102, v23
	v_fma_f32 v30, v0, v16, -v12
	v_fma_f32 v31, v99, v18, -v13
	v_mul_f32_e32 v0, v3, v21
	ds_read_b64 v[12:13], v95
	v_fmac_f32_e32 v29, v100, v18
	ds_read2_b64 v[95:98], v96 offset0:95 offset1:220
	v_mul_f32_e32 v15, v2, v21
	v_fma_f32 v18, v2, v20, -v0
	s_waitcnt vmcnt(5) lgkmcnt(3)
	v_mul_f32_e32 v0, v5, v69
	v_mul_f32_e32 v17, v101, v23
	v_fma_f32 v19, v101, v22, -v1
	v_mul_f32_e32 v32, v4, v69
	s_waitcnt lgkmcnt(2)
	v_mul_f32_e32 v1, v9, v71
	v_fma_f32 v34, v4, v68, -v0
	s_waitcnt vmcnt(4)
	v_mul_f32_e32 v0, v7, v85
	v_mul_f32_e32 v4, v11, v87
	;; [unrolled: 1-line block ×3, first 2 shown]
	v_fmac_f32_e32 v41, v120, v14
	v_fmac_f32_e32 v15, v3, v20
	;; [unrolled: 1-line block ×3, first 2 shown]
	v_fma_f32 v35, v8, v70, -v1
	v_fma_f32 v22, v6, v84, -v0
	ds_read2_b64 v[99:102], v94 offset0:77 offset1:202
	ds_read_b64 v[0:1], v81
	ds_read_b64 v[2:3], v77
	ds_read2_b64 v[117:120], v93 offset0:59 offset1:184
	v_fma_f32 v23, v10, v86, -v4
	v_fmac_f32_e32 v21, v11, v86
	ds_read_b64 v[10:11], v74
	v_fmac_f32_e32 v32, v5, v68
	s_waitcnt vmcnt(3) lgkmcnt(6)
	v_mul_f32_e32 v5, v89, v13
	v_mul_f32_e32 v33, v8, v71
	;; [unrolled: 1-line block ×3, first 2 shown]
	s_waitcnt lgkmcnt(5)
	v_mul_f32_e32 v4, v91, v98
	v_mul_f32_e32 v20, v6, v85
	v_fma_f32 v69, v88, v12, -v5
	s_waitcnt vmcnt(2)
	v_mul_f32_e32 v5, v96, v106
	v_fmac_f32_e32 v33, v9, v70
	v_mul_f32_e32 v70, v91, v97
	v_fmac_f32_e32 v68, v88, v13
	v_fma_f32 v71, v90, v97, -v4
	v_fma_f32 v13, v95, v105, -v5
	ds_read_b64 v[4:5], v74 offset:29000
	v_fmac_f32_e32 v20, v7, v84
	v_fmac_f32_e32 v70, v90, v98
	s_waitcnt vmcnt(1) lgkmcnt(5)
	v_mul_f32_e32 v7, v110, v102
	v_mul_f32_e32 v72, v110, v101
	s_waitcnt lgkmcnt(2)
	v_mul_f32_e32 v8, v120, v112
	v_mul_f32_e32 v73, v119, v112
	s_waitcnt lgkmcnt(1)
	v_add_f32_e32 v25, v10, v69
	v_add_f32_e32 v26, v11, v68
	v_fma_f32 v82, v109, v101, -v7
	v_fmac_f32_e32 v72, v109, v102
	v_fma_f32 v83, v119, v111, -v8
	v_fmac_f32_e32 v73, v120, v111
	v_add_f32_e32 v84, v25, v71
	v_add_f32_e32 v85, v26, v70
	v_mul_f32_e32 v12, v95, v106
	v_mul_f32_e32 v6, v100, v108
	s_waitcnt vmcnt(0)
	v_mul_f32_e32 v28, v118, v114
	v_add_f32_e32 v84, v84, v82
	v_add_f32_e32 v85, v85, v72
	v_sub_f32_e32 v90, v69, v71
	v_sub_f32_e32 v91, v83, v82
	;; [unrolled: 1-line block ×4, first 2 shown]
	v_fma_f32 v16, v99, v107, -v6
	ds_read_b64 v[6:7], v78
	ds_read_b64 v[8:9], v79
	v_fma_f32 v26, v117, v113, -v28
	s_waitcnt lgkmcnt(2)
	v_mul_f32_e32 v28, v5, v116
	v_mul_f32_e32 v25, v4, v116
	v_add_f32_e32 v84, v84, v83
	v_add_f32_e32 v85, v85, v73
	;; [unrolled: 1-line block ×6, first 2 shown]
	v_fmac_f32_e32 v12, v96, v105
	v_fma_f32 v28, v4, v115, -v28
	v_fmac_f32_e32 v25, v5, v115
	ds_read_b64 v[4:5], v51
	s_waitcnt lgkmcnt(0)
	v_add_f32_e32 v87, v70, v72
	s_barrier
	v_fma_f32 v86, -0.5, v86, v10
	v_sub_f32_e32 v96, v70, v72
	buffer_gl0_inv
	ds_write_b64 v74, v[84:85]
	v_add_f32_e32 v84, v68, v73
	v_fma_f32 v10, -0.5, v94, v10
	v_fma_f32 v87, -0.5, v87, v11
	v_sub_f32_e32 v92, v68, v73
	v_sub_f32_e32 v97, v71, v82
	;; [unrolled: 1-line block ×3, first 2 shown]
	v_fmac_f32_e32 v11, -0.5, v84
	v_sub_f32_e32 v82, v82, v83
	v_sub_f32_e32 v70, v70, v68
	v_fmamk_f32 v68, v96, 0xbf737871, v10
	v_fmac_f32_e32 v10, 0x3f737871, v96
	v_sub_f32_e32 v93, v69, v83
	v_sub_f32_e32 v72, v72, v73
	v_fmamk_f32 v69, v97, 0x3f737871, v11
	v_add_f32_e32 v71, v71, v82
	v_fmac_f32_e32 v68, 0x3f167918, v92
	v_fmac_f32_e32 v10, 0xbf167918, v92
	;; [unrolled: 1-line block ×3, first 2 shown]
	v_fmamk_f32 v88, v92, 0x3f737871, v86
	v_fmamk_f32 v89, v93, 0xbf737871, v87
	v_add_f32_e32 v70, v70, v72
	v_fmac_f32_e32 v69, 0xbf167918, v93
	v_fmac_f32_e32 v68, 0x3e9e377a, v71
	;; [unrolled: 1-line block ×4, first 2 shown]
	v_add_f32_e32 v71, v8, v47
	v_add_f32_e32 v72, v9, v45
	v_fmac_f32_e32 v86, 0xbf737871, v92
	v_fmac_f32_e32 v87, 0x3f737871, v93
	;; [unrolled: 1-line block ×6, first 2 shown]
	v_add_f32_e32 v70, v71, v48
	v_add_f32_e32 v71, v72, v46
	v_fmac_f32_e32 v86, 0xbf167918, v96
	v_fmac_f32_e32 v87, 0x3f167918, v97
	v_fmac_f32_e32 v88, 0x3e9e377a, v90
	v_fmac_f32_e32 v89, 0x3e9e377a, v91
	ds_write_b64 v74, v[68:69] offset:12000
	v_add_f32_e32 v69, v71, v49
	v_sub_f32_e32 v82, v45, v46
	v_sub_f32_e32 v83, v66, v49
	v_fmac_f32_e32 v86, 0x3e9e377a, v90
	v_fmac_f32_e32 v87, 0x3e9e377a, v91
	ds_write_b64 v74, v[88:89] offset:6000
	v_add_f32_e32 v68, v70, v50
	ds_write_b64 v74, v[10:11] offset:18000
	ds_write_b64 v74, v[86:87] offset:24000
	v_add_f32_e32 v70, v48, v50
	v_add_f32_e32 v11, v69, v66
	v_sub_f32_e32 v69, v47, v48
	v_sub_f32_e32 v71, v67, v50
	v_add_f32_e32 v73, v46, v49
	v_add_f32_e32 v82, v82, v83
	;; [unrolled: 1-line block ×5, first 2 shown]
	v_fma_f32 v68, -0.5, v70, v8
	v_sub_f32_e32 v72, v45, v66
	v_sub_f32_e32 v84, v46, v49
	v_add_f32_e32 v85, v69, v71
	v_fma_f32 v69, -0.5, v73, v9
	v_sub_f32_e32 v73, v47, v67
	v_sub_f32_e32 v87, v48, v50
	v_fma_f32 v8, -0.5, v83, v8
	v_fmac_f32_e32 v9, -0.5, v86
	v_fmamk_f32 v70, v72, 0x3f737871, v68
	v_fmamk_f32 v71, v73, 0xbf737871, v69
	v_sub_f32_e32 v47, v48, v47
	v_sub_f32_e32 v48, v50, v67
	;; [unrolled: 1-line block ×4, first 2 shown]
	v_fmamk_f32 v45, v84, 0xbf737871, v8
	v_fmamk_f32 v46, v87, 0x3f737871, v9
	v_fmac_f32_e32 v8, 0x3f737871, v84
	v_fmac_f32_e32 v9, 0xbf737871, v87
	;; [unrolled: 1-line block ×4, first 2 shown]
	v_add_f32_e32 v47, v47, v48
	v_add_f32_e32 v48, v50, v49
	v_fmac_f32_e32 v8, 0xbf167918, v72
	ds_write_b64 v79, v[10:11]
	v_add_f32_e32 v10, v6, v38
	v_fmac_f32_e32 v9, 0x3f167918, v73
	v_add_f32_e32 v11, v7, v36
	v_fmac_f32_e32 v45, 0x3f167918, v72
	v_fmac_f32_e32 v46, 0xbf167918, v73
	;; [unrolled: 1-line block ×7, first 2 shown]
	v_add_f32_e32 v10, v10, v39
	v_fmac_f32_e32 v9, 0x3e9e377a, v48
	v_add_f32_e32 v11, v11, v37
	v_fmac_f32_e32 v45, 0x3e9e377a, v47
	v_fmac_f32_e32 v46, 0x3e9e377a, v48
	ds_write_b64 v79, v[70:71] offset:6000
	ds_write_b64 v79, v[45:46] offset:12000
	v_fmac_f32_e32 v68, 0xbf167918, v84
	v_fmac_f32_e32 v69, 0x3f167918, v87
	v_add_f32_e32 v10, v10, v42
	ds_write_b64 v79, v[8:9] offset:18000
	v_add_f32_e32 v9, v11, v40
	v_fmac_f32_e32 v68, 0x3e9e377a, v85
	v_fmac_f32_e32 v69, 0x3e9e377a, v82
	v_add_f32_e32 v8, v10, v43
	v_add_f32_e32 v10, v39, v42
	;; [unrolled: 1-line block ×4, first 2 shown]
	ds_write_b64 v79, v[68:69] offset:24000
	v_sub_f32_e32 v67, v37, v40
	v_fma_f32 v10, -0.5, v10, v6
	ds_write_b64 v78, v[8:9]
	v_add_f32_e32 v8, v38, v43
	v_add_f32_e32 v9, v36, v41
	v_fma_f32 v11, -0.5, v11, v7
	v_sub_f32_e32 v71, v39, v42
	v_sub_f32_e32 v47, v38, v39
	v_fma_f32 v6, -0.5, v8, v6
	v_fmac_f32_e32 v7, -0.5, v9
	v_sub_f32_e32 v49, v36, v41
	v_sub_f32_e32 v50, v38, v43
	;; [unrolled: 1-line block ×7, first 2 shown]
	v_fmamk_f32 v8, v67, 0xbf737871, v6
	v_fmamk_f32 v9, v71, 0x3f737871, v7
	v_fmac_f32_e32 v6, 0x3f737871, v67
	v_fmac_f32_e32 v7, 0xbf737871, v71
	v_add_f32_e32 v38, v38, v39
	v_add_f32_e32 v36, v36, v37
	v_fmac_f32_e32 v8, 0x3f167918, v49
	v_fmac_f32_e32 v9, 0xbf167918, v50
	;; [unrolled: 1-line block ×4, first 2 shown]
	v_sub_f32_e32 v48, v43, v42
	v_fmamk_f32 v45, v49, 0x3f737871, v10
	v_sub_f32_e32 v70, v41, v40
	v_fmamk_f32 v46, v50, 0xbf737871, v11
	v_fmac_f32_e32 v8, 0x3e9e377a, v38
	v_fmac_f32_e32 v9, 0x3e9e377a, v36
	;; [unrolled: 1-line block ×5, first 2 shown]
	v_add_f32_e32 v36, v31, v34
	v_fmac_f32_e32 v11, 0x3f737871, v50
	v_add_f32_e32 v47, v47, v48
	v_add_f32_e32 v48, v66, v70
	ds_write_b64 v78, v[8:9] offset:12000
	v_fmac_f32_e32 v10, 0xbf167918, v67
	ds_write_b64 v78, v[6:7] offset:18000
	v_fma_f32 v6, -0.5, v36, v4
	v_sub_f32_e32 v7, v27, v33
	v_fmac_f32_e32 v11, 0x3f167918, v71
	v_sub_f32_e32 v9, v30, v31
	v_sub_f32_e32 v36, v35, v34
	v_fmac_f32_e32 v10, 0x3e9e377a, v47
	v_fmamk_f32 v8, v7, 0x3f737871, v6
	v_sub_f32_e32 v37, v29, v32
	v_fmac_f32_e32 v11, 0x3e9e377a, v48
	v_fmac_f32_e32 v6, 0xbf737871, v7
	v_add_f32_e32 v9, v9, v36
	v_add_f32_e32 v36, v30, v35
	v_fmac_f32_e32 v8, 0x3f167918, v37
	ds_write_b64 v78, v[10:11] offset:24000
	v_fmac_f32_e32 v6, 0xbf167918, v37
	v_add_f32_e32 v10, v4, v30
	v_fma_f32 v4, -0.5, v36, v4
	v_add_f32_e32 v11, v5, v27
	v_fmac_f32_e32 v8, 0x3e9e377a, v9
	v_fmac_f32_e32 v6, 0x3e9e377a, v9
	v_sub_f32_e32 v9, v31, v30
	v_add_f32_e32 v36, v10, v31
	v_sub_f32_e32 v38, v34, v35
	v_add_f32_e32 v11, v11, v29
	v_fmamk_f32 v10, v37, 0xbf737871, v4
	v_fmac_f32_e32 v4, 0x3f737871, v37
	v_add_f32_e32 v39, v27, v33
	v_add_f32_e32 v38, v9, v38
	;; [unrolled: 1-line block ×3, first 2 shown]
	v_fmac_f32_e32 v10, 0x3f167918, v7
	v_fmac_f32_e32 v4, 0xbf167918, v7
	v_add_f32_e32 v7, v29, v32
	v_sub_f32_e32 v11, v33, v32
	v_add_f32_e32 v37, v9, v33
	v_sub_f32_e32 v9, v27, v29
	v_sub_f32_e32 v30, v30, v35
	v_fma_f32 v7, -0.5, v7, v5
	v_sub_f32_e32 v31, v31, v34
	v_fmac_f32_e32 v5, -0.5, v39
	v_sub_f32_e32 v27, v29, v27
	v_sub_f32_e32 v29, v32, v33
	v_add_f32_e32 v36, v36, v34
	v_add_f32_e32 v34, v9, v11
	v_fmamk_f32 v9, v30, 0xbf737871, v7
	v_fmac_f32_e32 v7, 0x3f737871, v30
	v_fmamk_f32 v11, v31, 0x3f737871, v5
	v_fmac_f32_e32 v5, 0xbf737871, v31
	v_add_f32_e32 v27, v27, v29
	v_add_f32_e32 v29, v19, v22
	v_fmac_f32_e32 v9, 0xbf167918, v31
	v_fmac_f32_e32 v7, 0x3f167918, v31
	v_fmac_f32_e32 v11, 0xbf167918, v30
	v_fmac_f32_e32 v5, 0x3f167918, v30
	v_fma_f32 v29, -0.5, v29, v2
	v_sub_f32_e32 v30, v15, v21
	v_sub_f32_e32 v32, v18, v19
	;; [unrolled: 1-line block ×3, first 2 shown]
	v_fmac_f32_e32 v9, 0x3e9e377a, v34
	v_fmac_f32_e32 v7, 0x3e9e377a, v34
	v_fmamk_f32 v31, v30, 0x3f737871, v29
	v_sub_f32_e32 v34, v17, v20
	v_fmac_f32_e32 v11, 0x3e9e377a, v27
	v_fmac_f32_e32 v29, 0xbf737871, v30
	v_add_f32_e32 v32, v32, v33
	v_add_f32_e32 v33, v18, v23
	v_fmac_f32_e32 v5, 0x3e9e377a, v27
	v_add_f32_e32 v27, v2, v18
	v_fmac_f32_e32 v31, 0x3f167918, v34
	v_fmac_f32_e32 v29, 0xbf167918, v34
	v_fma_f32 v2, -0.5, v33, v2
	v_add_f32_e32 v33, v3, v15
	v_add_f32_e32 v27, v27, v19
	;; [unrolled: 1-line block ×3, first 2 shown]
	v_fmac_f32_e32 v10, 0x3e9e377a, v38
	v_fmac_f32_e32 v4, 0x3e9e377a, v38
	;; [unrolled: 1-line block ×4, first 2 shown]
	v_sub_f32_e32 v32, v19, v18
	v_sub_f32_e32 v35, v22, v23
	v_add_f32_e32 v38, v33, v17
	v_add_f32_e32 v27, v27, v22
	v_fmamk_f32 v33, v34, 0xbf737871, v2
	v_fmac_f32_e32 v2, 0x3f737871, v34
	v_add_f32_e32 v35, v32, v35
	v_add_f32_e32 v32, v38, v20
	;; [unrolled: 1-line block ×4, first 2 shown]
	v_fmac_f32_e32 v33, 0x3f167918, v30
	v_fmac_f32_e32 v2, 0xbf167918, v30
	v_add_f32_e32 v39, v32, v21
	v_sub_f32_e32 v32, v15, v17
	v_sub_f32_e32 v34, v21, v20
	v_add_f32_e32 v40, v15, v21
	v_fma_f32 v30, -0.5, v27, v3
	v_sub_f32_e32 v18, v18, v23
	v_sub_f32_e32 v19, v19, v22
	v_add_f32_e32 v22, v32, v34
	v_fmac_f32_e32 v3, -0.5, v40
	v_sub_f32_e32 v15, v17, v15
	v_fmamk_f32 v32, v18, 0xbf737871, v30
	v_fmac_f32_e32 v30, 0x3f737871, v18
	v_sub_f32_e32 v17, v20, v21
	v_mul_f32_e32 v14, v99, v108
	v_mul_f32_e32 v24, v117, v114
	v_fmamk_f32 v34, v19, 0x3f737871, v3
	v_fmac_f32_e32 v3, 0xbf737871, v19
	v_fmac_f32_e32 v32, 0xbf167918, v19
	;; [unrolled: 1-line block ×3, first 2 shown]
	v_add_f32_e32 v19, v15, v17
	v_add_f32_e32 v15, v16, v26
	v_fmac_f32_e32 v14, v100, v107
	v_fmac_f32_e32 v24, v118, v113
	;; [unrolled: 1-line block ×4, first 2 shown]
	v_fma_f32 v17, -0.5, v15, v0
	v_sub_f32_e32 v18, v12, v25
	v_sub_f32_e32 v20, v13, v16
	;; [unrolled: 1-line block ×3, first 2 shown]
	v_fmac_f32_e32 v32, 0x3e9e377a, v22
	v_fmac_f32_e32 v30, 0x3e9e377a, v22
	v_fmamk_f32 v15, v18, 0x3f737871, v17
	v_sub_f32_e32 v22, v14, v24
	v_fmac_f32_e32 v17, 0xbf737871, v18
	v_add_f32_e32 v20, v20, v21
	v_add_f32_e32 v21, v13, v28
	v_fmac_f32_e32 v34, 0x3e9e377a, v19
	v_fmac_f32_e32 v15, 0x3f167918, v22
	;; [unrolled: 1-line block ×4, first 2 shown]
	v_add_f32_e32 v19, v0, v13
	v_fma_f32 v0, -0.5, v21, v0
	v_add_f32_e32 v21, v1, v12
	v_fmac_f32_e32 v15, 0x3e9e377a, v20
	v_fmac_f32_e32 v17, 0x3e9e377a, v20
	v_sub_f32_e32 v20, v16, v13
	v_add_f32_e32 v23, v19, v16
	v_sub_f32_e32 v27, v26, v28
	v_add_f32_e32 v21, v21, v14
	v_fmamk_f32 v19, v22, 0xbf737871, v0
	v_fmac_f32_e32 v0, 0x3f737871, v22
	v_fmac_f32_e32 v33, 0x3e9e377a, v35
	v_fmac_f32_e32 v2, 0x3e9e377a, v35
	v_add_f32_e32 v22, v23, v26
	v_add_f32_e32 v23, v20, v27
	v_add_f32_e32 v20, v21, v24
	v_fmac_f32_e32 v19, 0x3f167918, v18
	v_fmac_f32_e32 v0, 0xbf167918, v18
	v_add_f32_e32 v18, v14, v24
	v_add_f32_e32 v35, v12, v25
	;; [unrolled: 1-line block ×4, first 2 shown]
	v_sub_f32_e32 v20, v12, v14
	v_sub_f32_e32 v27, v25, v24
	v_fma_f32 v18, -0.5, v18, v1
	v_sub_f32_e32 v13, v13, v28
	v_sub_f32_e32 v26, v16, v26
	v_fmac_f32_e32 v1, -0.5, v35
	v_fmac_f32_e32 v45, 0x3f167918, v67
	v_fmac_f32_e32 v46, 0xbf167918, v71
	v_add_f32_e32 v27, v20, v27
	v_sub_f32_e32 v12, v14, v12
	v_fmamk_f32 v16, v13, 0xbf737871, v18
	v_fmac_f32_e32 v18, 0x3f737871, v13
	v_sub_f32_e32 v14, v24, v25
	v_fmamk_f32 v20, v26, 0x3f737871, v1
	v_fmac_f32_e32 v1, 0xbf737871, v26
	v_fmac_f32_e32 v45, 0x3e9e377a, v47
	;; [unrolled: 1-line block ×5, first 2 shown]
	v_add_f32_e32 v12, v12, v14
	v_fmac_f32_e32 v20, 0xbf167918, v13
	v_fmac_f32_e32 v1, 0x3f167918, v13
	ds_write_b64 v78, v[45:46] offset:6000
	v_fmac_f32_e32 v19, 0x3e9e377a, v23
	v_fmac_f32_e32 v0, 0x3e9e377a, v23
	v_fmac_f32_e32 v16, 0x3e9e377a, v27
	v_fmac_f32_e32 v18, 0x3e9e377a, v27
	v_fmac_f32_e32 v20, 0x3e9e377a, v12
	v_fmac_f32_e32 v1, 0x3e9e377a, v12
	ds_write_b64 v51, v[36:37]
	ds_write_b64 v51, v[8:9] offset:6000
	ds_write_b64 v51, v[10:11] offset:12000
	ds_write_b64 v51, v[4:5] offset:18000
	ds_write_b64 v51, v[6:7] offset:24000
	ds_write_b64 v77, v[38:39]
	ds_write_b64 v77, v[31:32] offset:6000
	ds_write_b64 v77, v[33:34] offset:12000
	ds_write_b64 v77, v[2:3] offset:18000
	ds_write_b64 v77, v[29:30] offset:24000
	;; [unrolled: 5-line block ×3, first 2 shown]
	s_waitcnt lgkmcnt(0)
	s_barrier
	buffer_gl0_inv
	ds_read_b64 v[2:3], v74
	v_sub_nc_u32_e32 v4, 0, v53
                                        ; implicit-def: $vgpr1
                                        ; implicit-def: $vgpr7
	v_cmpx_ne_u32_e32 0, v52
	s_xor_b32 s5, exec_lo, s5
	s_cbranch_execz .LBB0_15
; %bb.14:
	v_mov_b32_e32 v53, v44
	v_lshlrev_b64 v[0:1], 3, v[52:53]
	v_add_co_u32 v0, s0, s1, v0
	v_add_co_ci_u32_e64 v1, s0, s4, v1, s0
	global_load_dwordx2 v[5:6], v[0:1], off
	ds_read_b64 v[0:1], v4 offset:30000
	s_waitcnt lgkmcnt(0)
	v_sub_f32_e32 v7, v2, v0
	v_add_f32_e32 v8, v1, v3
	v_sub_f32_e32 v1, v3, v1
	v_add_f32_e32 v0, v0, v2
	v_mul_f32_e32 v3, 0.5, v7
	v_mul_f32_e32 v2, 0.5, v8
	;; [unrolled: 1-line block ×3, first 2 shown]
	s_waitcnt vmcnt(0)
	v_mul_f32_e32 v7, v6, v3
	v_fma_f32 v8, v2, v6, v1
	v_fma_f32 v1, v2, v6, -v1
	v_fma_f32 v9, 0.5, v0, v7
	v_fma_f32 v0, v0, 0.5, -v7
	v_fma_f32 v7, -v5, v3, v8
	v_fma_f32 v1, -v5, v3, v1
	v_fmac_f32_e32 v9, v5, v2
	v_fma_f32 v0, -v5, v2, v0
                                        ; implicit-def: $vgpr2_vgpr3
	ds_write_b32 v74, v9
.LBB0_15:
	s_or_saveexec_b32 s0, s5
	v_sub_nc_u32_e32 v5, 0, v57
	v_sub_nc_u32_e32 v6, 0, v80
	s_xor_b32 exec_lo, exec_lo, s0
	s_cbranch_execz .LBB0_17
; %bb.16:
	v_mov_b32_e32 v7, 0
	s_waitcnt lgkmcnt(0)
	v_add_f32_e32 v8, v2, v3
	v_sub_f32_e32 v0, v2, v3
	ds_read_b32 v1, v7 offset:15004
	s_waitcnt lgkmcnt(0)
	v_xor_b32_e32 v2, 0x80000000, v1
	v_mov_b32_e32 v1, v7
	ds_write_b32 v74, v8
	ds_write_b32 v7, v2 offset:15004
.LBB0_17:
	s_or_b32 exec_lo, exec_lo, s0
	v_mov_b32_e32 v57, 0
	s_waitcnt lgkmcnt(0)
	v_lshlrev_b64 v[2:3], 3, v[56:57]
	v_mov_b32_e32 v66, v57
	v_add_nc_u32_e32 v56, 0x36b, v52
	v_lshlrev_b64 v[8:9], 3, v[65:66]
	v_add_co_u32 v2, s0, s1, v2
	v_add_co_ci_u32_e64 v3, s0, s4, v3, s0
	v_mov_b32_e32 v65, v57
	v_add_co_u32 v8, s0, s1, v8
	global_load_dwordx2 v[2:3], v[2:3], off
	v_add_co_ci_u32_e64 v9, s0, s4, v9, s0
	v_lshlrev_b64 v[10:11], 3, v[64:65]
	v_mov_b32_e32 v64, v57
	v_lshlrev_b64 v[18:19], 3, v[56:57]
	global_load_dwordx2 v[8:9], v[8:9], off
	v_add_nc_u32_e32 v56, 0x3e8, v52
	v_add_co_u32 v10, s0, s1, v10
	v_add_co_ci_u32_e64 v11, s0, s4, v11, s0
	v_lshlrev_b64 v[12:13], 3, v[63:64]
	v_mov_b32_e32 v63, v57
	global_load_dwordx2 v[10:11], v[10:11], off
	v_add_co_u32 v12, s0, s1, v12
	v_add_co_ci_u32_e64 v13, s0, s4, v13, s0
	v_lshlrev_b64 v[14:15], 3, v[62:63]
	v_mov_b32_e32 v62, v57
	global_load_dwordx2 v[12:13], v[12:13], off
	;; [unrolled: 5-line block ×3, first 2 shown]
	v_add_co_u32 v16, s0, s1, v16
	v_add_co_ci_u32_e64 v17, s0, s4, v17, s0
	v_add_co_u32 v18, s0, s1, v18
	v_add_co_ci_u32_e64 v19, s0, s4, v19, s0
	global_load_dwordx2 v[16:17], v[16:17], off
	ds_write_b32 v74, v7 offset:4
	ds_write_b64 v4, v[0:1] offset:30000
	ds_read_b64 v[0:1], v79
	ds_read_b64 v[20:21], v4 offset:29000
	global_load_dwordx2 v[18:19], v[18:19], off
	s_waitcnt lgkmcnt(0)
	v_sub_f32_e32 v7, v0, v20
	v_add_f32_e32 v22, v1, v21
	v_sub_f32_e32 v1, v1, v21
	v_add_f32_e32 v20, v0, v20
	v_mul_f32_e32 v7, 0.5, v7
	v_mul_f32_e32 v21, 0.5, v22
	;; [unrolled: 1-line block ×3, first 2 shown]
	s_waitcnt vmcnt(6)
	v_mul_f32_e32 v22, v3, v7
	v_fma_f32 v23, v21, v3, v1
	v_fma_f32 v3, v21, v3, -v1
	v_fma_f32 v0, 0.5, v20, v22
	v_fma_f32 v20, v20, 0.5, -v22
	v_fma_f32 v1, -v2, v7, v23
	v_fma_f32 v3, -v2, v7, v3
	v_fmac_f32_e32 v0, v2, v21
	v_fma_f32 v2, -v2, v21, v20
	v_lshlrev_b64 v[20:21], 3, v[56:57]
	v_add_nc_u32_e32 v56, 0x4e2, v52
	ds_write_b64 v79, v[0:1]
	ds_write_b64 v4, v[2:3] offset:29000
	ds_read_b64 v[0:1], v78
	ds_read_b64 v[2:3], v4 offset:28000
	v_add_co_u32 v20, s0, s1, v20
	v_add_co_ci_u32_e64 v21, s0, s4, v21, s0
	global_load_dwordx2 v[20:21], v[20:21], off
	s_waitcnt lgkmcnt(0)
	v_sub_f32_e32 v7, v0, v2
	v_add_f32_e32 v22, v1, v3
	v_sub_f32_e32 v1, v1, v3
	v_add_f32_e32 v2, v0, v2
	v_mul_f32_e32 v7, 0.5, v7
	v_mul_f32_e32 v22, 0.5, v22
	;; [unrolled: 1-line block ×3, first 2 shown]
	s_waitcnt vmcnt(6)
	v_mul_f32_e32 v3, v9, v7
	v_fma_f32 v23, v22, v9, v1
	v_fma_f32 v9, v22, v9, -v1
	v_fma_f32 v0, 0.5, v2, v3
	v_fma_f32 v24, v2, 0.5, -v3
	v_lshlrev_b64 v[2:3], 3, v[60:61]
	v_fma_f32 v1, -v8, v7, v23
	v_fma_f32 v9, -v8, v7, v9
	v_fmac_f32_e32 v0, v8, v22
	v_fma_f32 v8, -v8, v22, v24
	ds_write_b64 v78, v[0:1]
	ds_write_b64 v4, v[8:9] offset:28000
	v_add_co_u32 v2, s0, s1, v2
	v_add_co_ci_u32_e64 v3, s0, s4, v3, s0
	ds_read_b64 v[0:1], v51
	ds_read_b64 v[7:8], v4 offset:27000
	global_load_dwordx2 v[2:3], v[2:3], off
	s_waitcnt lgkmcnt(0)
	v_sub_f32_e32 v9, v0, v7
	v_add_f32_e32 v22, v1, v8
	v_sub_f32_e32 v1, v1, v8
	v_add_f32_e32 v7, v0, v7
	v_mul_f32_e32 v9, 0.5, v9
	v_mul_f32_e32 v22, 0.5, v22
	;; [unrolled: 1-line block ×3, first 2 shown]
	s_waitcnt vmcnt(6)
	v_mul_f32_e32 v8, v11, v9
	v_fma_f32 v23, v22, v11, v1
	v_fma_f32 v11, v22, v11, -v1
	v_fma_f32 v0, 0.5, v7, v8
	v_fma_f32 v24, v7, 0.5, -v8
	v_lshlrev_b64 v[7:8], 3, v[56:57]
	v_fma_f32 v1, -v10, v9, v23
	v_fma_f32 v11, -v10, v9, v11
	v_fmac_f32_e32 v0, v10, v22
	v_fma_f32 v10, -v10, v22, v24
	ds_write_b64 v51, v[0:1]
	ds_write_b64 v4, v[10:11] offset:27000
	v_add_co_u32 v7, s0, s1, v7
	v_add_co_ci_u32_e64 v8, s0, s4, v8, s0
	ds_read_b64 v[0:1], v77
	ds_read_b64 v[9:10], v4 offset:26000
	v_add_nc_u32_e32 v56, 0x55f, v52
	v_add_nc_u32_e32 v23, v76, v6
	global_load_dwordx2 v[7:8], v[7:8], off
	s_waitcnt lgkmcnt(0)
	v_sub_f32_e32 v11, v0, v9
	v_add_f32_e32 v22, v1, v10
	v_sub_f32_e32 v1, v1, v10
	v_add_f32_e32 v9, v0, v9
	v_mul_f32_e32 v11, 0.5, v11
	v_mul_f32_e32 v22, 0.5, v22
	v_mul_f32_e32 v1, 0.5, v1
	s_waitcnt vmcnt(6)
	v_mul_f32_e32 v10, v13, v11
	v_fma_f32 v6, v22, v13, v1
	v_fma_f32 v13, v22, v13, -v1
	v_fma_f32 v0, 0.5, v9, v10
	v_fma_f32 v24, v9, 0.5, -v10
	v_lshlrev_b64 v[9:10], 3, v[56:57]
	v_fma_f32 v1, -v12, v11, v6
	v_fma_f32 v13, -v12, v11, v13
	v_fmac_f32_e32 v0, v12, v22
	v_fma_f32 v12, -v12, v22, v24
	ds_write_b64 v77, v[0:1]
	ds_write_b64 v4, v[12:13] offset:26000
	v_add_co_u32 v9, s0, s1, v9
	v_add_co_ci_u32_e64 v10, s0, s4, v10, s0
	ds_read_b64 v[0:1], v23
	ds_read_b64 v[11:12], v4 offset:25000
	v_add_nc_u32_e32 v56, 0x5dc, v52
	v_add_nc_u32_e32 v22, v75, v5
	global_load_dwordx2 v[9:10], v[9:10], off
	s_waitcnt lgkmcnt(0)
	v_sub_f32_e32 v6, v0, v11
	v_add_f32_e32 v13, v1, v12
	v_sub_f32_e32 v1, v1, v12
	v_mul_f32_e32 v12, 0.5, v6
	v_mul_f32_e32 v13, 0.5, v13
	;; [unrolled: 1-line block ×3, first 2 shown]
	v_add_f32_e32 v6, v0, v11
	s_waitcnt vmcnt(6)
	v_mul_f32_e32 v11, v15, v12
	v_fma_f32 v24, v13, v15, v1
	v_fma_f32 v15, v13, v15, -v1
	v_fma_f32 v0, 0.5, v6, v11
	v_fma_f32 v11, v6, 0.5, -v11
	v_lshlrev_b64 v[5:6], 3, v[56:57]
	v_fma_f32 v1, -v14, v12, v24
	v_fma_f32 v12, -v14, v12, v15
	v_fmac_f32_e32 v0, v14, v13
	v_fma_f32 v11, -v14, v13, v11
	ds_write_b64 v23, v[0:1]
	ds_write_b64 v4, v[11:12] offset:25000
	v_add_co_u32 v5, s0, s1, v5
	v_add_co_ci_u32_e64 v6, s0, s4, v6, s0
	ds_read_b64 v[0:1], v22
	ds_read_b64 v[11:12], v4 offset:24000
	v_add_nc_u32_e32 v56, 0x659, v52
	global_load_dwordx2 v[5:6], v[5:6], off
	s_waitcnt lgkmcnt(0)
	v_sub_f32_e32 v13, v0, v11
	v_add_f32_e32 v14, v1, v12
	v_sub_f32_e32 v1, v1, v12
	v_add_f32_e32 v11, v0, v11
	v_mul_f32_e32 v13, 0.5, v13
	v_mul_f32_e32 v15, 0.5, v14
	v_mul_f32_e32 v1, 0.5, v1
	s_waitcnt vmcnt(6)
	v_mul_f32_e32 v12, v17, v13
	v_fma_f32 v14, v15, v17, v1
	v_fma_f32 v17, v15, v17, -v1
	v_fma_f32 v0, 0.5, v11, v12
	v_fma_f32 v23, v11, 0.5, -v12
	v_lshlrev_b64 v[11:12], 3, v[56:57]
	v_fma_f32 v1, -v16, v13, v14
	v_fma_f32 v14, -v16, v13, v17
	v_fmac_f32_e32 v0, v16, v15
	v_fma_f32 v13, -v16, v15, v23
	ds_write_b64 v22, v[0:1]
	ds_write_b64 v4, v[13:14] offset:24000
	v_add_co_u32 v11, s0, s1, v11
	v_add_co_ci_u32_e64 v12, s0, s4, v12, s0
	ds_read_b64 v[0:1], v74 offset:7000
	ds_read_b64 v[13:14], v4 offset:23000
	v_add_nc_u32_e32 v56, 0x6d6, v52
	global_load_dwordx2 v[11:12], v[11:12], off
	s_waitcnt lgkmcnt(0)
	v_add_f32_e32 v16, v1, v14
	v_sub_f32_e32 v1, v1, v14
	v_sub_f32_e32 v15, v0, v13
	v_mul_f32_e32 v17, 0.5, v16
	v_mul_f32_e32 v14, 0.5, v1
	v_add_f32_e32 v16, v0, v13
	v_lshlrev_b64 v[0:1], 3, v[56:57]
	v_mul_f32_e32 v15, 0.5, v15
	s_waitcnt vmcnt(6)
	v_fma_f32 v23, v17, v19, v14
	v_add_co_u32 v0, s0, s1, v0
	v_add_co_ci_u32_e64 v1, s0, s4, v1, s0
	v_mul_f32_e32 v22, v19, v15
	v_fma_f32 v19, v17, v19, -v14
	v_fma_f32 v14, -v18, v15, v23
	global_load_dwordx2 v[0:1], v[0:1], off
	v_fma_f32 v13, 0.5, v16, v22
	v_fma_f32 v22, v16, 0.5, -v22
	v_fma_f32 v16, -v18, v15, v19
	v_fmac_f32_e32 v13, v18, v17
	v_fma_f32 v15, -v18, v17, v22
	ds_write_b64 v74, v[13:14] offset:7000
	ds_write_b64 v4, v[15:16] offset:23000
	ds_read_b64 v[13:14], v74 offset:8000
	ds_read_b64 v[15:16], v4 offset:22000
	s_waitcnt lgkmcnt(0)
	v_sub_f32_e32 v17, v13, v15
	v_add_f32_e32 v18, v14, v16
	v_sub_f32_e32 v14, v14, v16
	v_add_f32_e32 v15, v13, v15
	v_mul_f32_e32 v16, 0.5, v17
	v_mul_f32_e32 v17, 0.5, v18
	;; [unrolled: 1-line block ×3, first 2 shown]
	s_waitcnt vmcnt(6)
	v_mul_f32_e32 v18, v21, v16
	v_fma_f32 v19, v17, v21, v14
	v_fma_f32 v21, v17, v21, -v14
	v_fma_f32 v13, 0.5, v15, v18
	v_fma_f32 v15, v15, 0.5, -v18
	v_fma_f32 v14, -v20, v16, v19
	v_fma_f32 v16, -v20, v16, v21
	v_fmac_f32_e32 v13, v20, v17
	v_fma_f32 v15, -v20, v17, v15
	ds_write_b64 v74, v[13:14] offset:8000
	ds_write_b64 v4, v[15:16] offset:22000
	ds_read_b64 v[13:14], v104
	ds_read_b64 v[15:16], v4 offset:21000
	s_waitcnt lgkmcnt(0)
	v_sub_f32_e32 v17, v13, v15
	v_add_f32_e32 v18, v14, v16
	v_sub_f32_e32 v14, v14, v16
	v_add_f32_e32 v15, v13, v15
	v_mul_f32_e32 v16, 0.5, v17
	v_mul_f32_e32 v17, 0.5, v18
	;; [unrolled: 1-line block ×3, first 2 shown]
	s_waitcnt vmcnt(5)
	v_mul_f32_e32 v18, v3, v16
	v_fma_f32 v19, v17, v3, v14
	v_fma_f32 v3, v17, v3, -v14
	v_fma_f32 v13, 0.5, v15, v18
	v_fma_f32 v15, v15, 0.5, -v18
	v_fma_f32 v14, -v2, v16, v19
	v_fma_f32 v3, -v2, v16, v3
	v_fmac_f32_e32 v13, v2, v17
	v_fma_f32 v2, -v2, v17, v15
	ds_write_b64 v104, v[13:14]
	ds_write_b64 v4, v[2:3] offset:21000
	ds_read_b64 v[2:3], v74 offset:10000
	ds_read_b64 v[13:14], v4 offset:20000
	s_waitcnt lgkmcnt(0)
	v_sub_f32_e32 v15, v2, v13
	v_add_f32_e32 v16, v3, v14
	v_sub_f32_e32 v3, v3, v14
	v_add_f32_e32 v13, v2, v13
	v_mul_f32_e32 v14, 0.5, v15
	v_mul_f32_e32 v15, 0.5, v16
	v_mul_f32_e32 v3, 0.5, v3
	s_waitcnt vmcnt(4)
	v_mul_f32_e32 v16, v8, v14
	v_fma_f32 v17, v15, v8, v3
	v_fma_f32 v8, v15, v8, -v3
	v_fma_f32 v2, 0.5, v13, v16
	v_fma_f32 v13, v13, 0.5, -v16
	v_fma_f32 v3, -v7, v14, v17
	v_fma_f32 v8, -v7, v14, v8
	v_fmac_f32_e32 v2, v7, v15
	v_fma_f32 v7, -v7, v15, v13
	ds_write_b64 v74, v[2:3] offset:10000
	ds_write_b64 v4, v[7:8] offset:20000
	ds_read_b64 v[2:3], v74 offset:11000
	ds_read_b64 v[7:8], v4 offset:19000
	s_waitcnt lgkmcnt(0)
	v_sub_f32_e32 v13, v2, v7
	v_add_f32_e32 v14, v3, v8
	v_sub_f32_e32 v3, v3, v8
	v_add_f32_e32 v7, v2, v7
	v_mul_f32_e32 v8, 0.5, v13
	v_mul_f32_e32 v13, 0.5, v14
	v_mul_f32_e32 v3, 0.5, v3
	s_waitcnt vmcnt(3)
	v_mul_f32_e32 v14, v10, v8
	v_fma_f32 v15, v13, v10, v3
	v_fma_f32 v10, v13, v10, -v3
	v_fma_f32 v2, 0.5, v7, v14
	v_fma_f32 v7, v7, 0.5, -v14
	v_fma_f32 v3, -v9, v8, v15
	v_fma_f32 v8, -v9, v8, v10
	v_fmac_f32_e32 v2, v9, v13
	v_fma_f32 v7, -v9, v13, v7
	ds_write_b64 v74, v[2:3] offset:11000
	;; [unrolled: 22-line block ×5, first 2 shown]
	ds_write_b64 v4, v[5:6] offset:16000
	s_waitcnt lgkmcnt(0)
	s_barrier
	buffer_gl0_inv
	s_and_saveexec_b32 s0, vcc_lo
	s_cbranch_execz .LBB0_20
; %bb.18:
	v_mul_lo_u32 v2, s3, v58
	v_mul_lo_u32 v3, s2, v59
	v_mad_u64_u32 v[0:1], null, s2, v58, 0
	v_lshl_add_u32 v24, v52, 3, 0
	v_mov_b32_e32 v53, v57
	v_lshlrev_b64 v[6:7], 3, v[54:55]
	v_add_nc_u32_e32 v56, 0x7d, v52
	v_add_nc_u32_e32 v12, 0x400, v24
	v_add3_u32 v1, v1, v3, v2
	ds_read2_b64 v[2:5], v24 offset1:125
	v_lshlrev_b64 v[8:9], 3, v[52:53]
	v_lshlrev_b64 v[10:11], 3, v[56:57]
	v_add_nc_u32_e32 v56, 0xfa, v52
	v_lshlrev_b64 v[0:1], 3, v[0:1]
	v_add_nc_u32_e32 v14, 0xc00, v24
	v_add_nc_u32_e32 v18, 0x1400, v24
	v_add_co_u32 v0, vcc_lo, s10, v0
	v_add_co_ci_u32_e32 v1, vcc_lo, s11, v1, vcc_lo
	v_add_co_u32 v0, vcc_lo, v0, v6
	v_add_co_ci_u32_e32 v1, vcc_lo, v1, v7, vcc_lo
	;; [unrolled: 2-line block ×4, first 2 shown]
	v_lshlrev_b64 v[10:11], 3, v[56:57]
	v_add_nc_u32_e32 v56, 0x177, v52
	s_waitcnt lgkmcnt(0)
	global_store_dwordx2 v[6:7], v[2:3], off
	global_store_dwordx2 v[8:9], v[4:5], off
	ds_read2_b64 v[2:5], v12 offset0:122 offset1:247
	ds_read2_b64 v[6:9], v14 offset0:116 offset1:241
	v_lshlrev_b64 v[12:13], 3, v[56:57]
	v_add_nc_u32_e32 v56, 0x1f4, v52
	v_add_co_u32 v10, vcc_lo, v0, v10
	v_add_co_ci_u32_e32 v11, vcc_lo, v1, v11, vcc_lo
	v_lshlrev_b64 v[14:15], 3, v[56:57]
	v_add_co_u32 v12, vcc_lo, v0, v12
	v_add_co_ci_u32_e32 v13, vcc_lo, v1, v13, vcc_lo
	v_add_nc_u32_e32 v56, 0x271, v52
	v_add_co_u32 v14, vcc_lo, v0, v14
	v_add_co_ci_u32_e32 v15, vcc_lo, v1, v15, vcc_lo
	v_lshlrev_b64 v[16:17], 3, v[56:57]
	v_add_nc_u32_e32 v56, 0x2ee, v52
	s_waitcnt lgkmcnt(1)
	global_store_dwordx2 v[10:11], v[2:3], off
	global_store_dwordx2 v[12:13], v[4:5], off
	s_waitcnt lgkmcnt(0)
	global_store_dwordx2 v[14:15], v[6:7], off
	ds_read2_b64 v[2:5], v18 offset0:110 offset1:235
	v_lshlrev_b64 v[6:7], 3, v[56:57]
	v_add_nc_u32_e32 v56, 0x36b, v52
	v_add_co_u32 v10, vcc_lo, v0, v16
	v_add_co_ci_u32_e32 v11, vcc_lo, v1, v17, vcc_lo
	v_lshlrev_b64 v[12:13], 3, v[56:57]
	v_add_nc_u32_e32 v56, 0x3e8, v52
	v_add_co_u32 v6, vcc_lo, v0, v6
	v_add_co_ci_u32_e32 v7, vcc_lo, v1, v7, vcc_lo
	v_add_co_u32 v12, vcc_lo, v0, v12
	v_lshlrev_b64 v[14:15], 3, v[56:57]
	v_add_nc_u32_e32 v56, 0x465, v52
	v_add_co_ci_u32_e32 v13, vcc_lo, v1, v13, vcc_lo
	v_add_nc_u32_e32 v16, 0x1c00, v24
	global_store_dwordx2 v[10:11], v[8:9], off
	s_waitcnt lgkmcnt(0)
	global_store_dwordx2 v[6:7], v[2:3], off
	global_store_dwordx2 v[12:13], v[4:5], off
	v_lshlrev_b64 v[10:11], 3, v[56:57]
	v_add_nc_u32_e32 v56, 0x4e2, v52
	v_add_nc_u32_e32 v6, 0x2400, v24
	ds_read2_b64 v[2:5], v16 offset0:104 offset1:229
	v_add_co_u32 v14, vcc_lo, v0, v14
	v_lshlrev_b64 v[12:13], 3, v[56:57]
	v_add_nc_u32_e32 v56, 0x55f, v52
	v_add_co_ci_u32_e32 v15, vcc_lo, v1, v15, vcc_lo
	ds_read2_b64 v[6:9], v6 offset0:98 offset1:223
	v_add_co_u32 v16, vcc_lo, v0, v10
	v_add_co_ci_u32_e32 v17, vcc_lo, v1, v11, vcc_lo
	v_lshlrev_b64 v[10:11], 3, v[56:57]
	v_add_co_u32 v18, vcc_lo, v0, v12
	v_add_nc_u32_e32 v12, 0x2c00, v24
	v_add_co_ci_u32_e32 v19, vcc_lo, v1, v13, vcc_lo
	v_add_nc_u32_e32 v56, 0x5dc, v52
	v_add_co_u32 v20, vcc_lo, v0, v10
	v_add_co_ci_u32_e32 v21, vcc_lo, v1, v11, vcc_lo
	ds_read2_b64 v[10:13], v12 offset0:92 offset1:217
	v_lshlrev_b64 v[22:23], 3, v[56:57]
	v_add_nc_u32_e32 v56, 0x659, v52
	s_waitcnt lgkmcnt(2)
	global_store_dwordx2 v[14:15], v[2:3], off
	global_store_dwordx2 v[16:17], v[4:5], off
	s_waitcnt lgkmcnt(1)
	global_store_dwordx2 v[18:19], v[6:7], off
	global_store_dwordx2 v[20:21], v[8:9], off
	v_add_nc_u32_e32 v6, 0x3400, v24
	v_add_nc_u32_e32 v7, 0x3c00, v24
	;; [unrolled: 1-line block ×3, first 2 shown]
	v_lshlrev_b64 v[2:3], 3, v[56:57]
	v_add_co_u32 v4, vcc_lo, v0, v22
	v_add_co_ci_u32_e32 v5, vcc_lo, v1, v23, vcc_lo
	v_add_nc_u32_e32 v56, 0x6d6, v52
	v_add_co_u32 v2, vcc_lo, v0, v2
	v_add_co_ci_u32_e32 v3, vcc_lo, v1, v3, vcc_lo
	v_lshlrev_b64 v[14:15], 3, v[56:57]
	v_add_nc_u32_e32 v56, 0x753, v52
	s_waitcnt lgkmcnt(0)
	global_store_dwordx2 v[4:5], v[10:11], off
	global_store_dwordx2 v[2:3], v[12:13], off
	ds_read2_b64 v[2:5], v6 offset0:86 offset1:211
	ds_read2_b64 v[6:9], v7 offset0:80 offset1:205
	v_lshlrev_b64 v[10:11], 3, v[56:57]
	v_add_nc_u32_e32 v56, 0x7d0, v52
	v_add_co_u32 v12, vcc_lo, v0, v14
	v_add_co_ci_u32_e32 v13, vcc_lo, v1, v15, vcc_lo
	v_lshlrev_b64 v[14:15], 3, v[56:57]
	v_add_co_u32 v10, vcc_lo, v0, v10
	v_add_co_ci_u32_e32 v11, vcc_lo, v1, v11, vcc_lo
	v_add_nc_u32_e32 v56, 0x84d, v52
	v_add_co_u32 v14, vcc_lo, v0, v14
	v_add_co_ci_u32_e32 v15, vcc_lo, v1, v15, vcc_lo
	v_lshlrev_b64 v[16:17], 3, v[56:57]
	v_add_nc_u32_e32 v56, 0x8ca, v52
	s_waitcnt lgkmcnt(1)
	global_store_dwordx2 v[12:13], v[2:3], off
	global_store_dwordx2 v[10:11], v[4:5], off
	s_waitcnt lgkmcnt(0)
	global_store_dwordx2 v[14:15], v[6:7], off
	ds_read2_b64 v[2:5], v18 offset0:74 offset1:199
	v_lshlrev_b64 v[6:7], 3, v[56:57]
	v_add_nc_u32_e32 v56, 0x947, v52
	v_add_co_u32 v10, vcc_lo, v0, v16
	v_add_co_ci_u32_e32 v11, vcc_lo, v1, v17, vcc_lo
	v_lshlrev_b64 v[12:13], 3, v[56:57]
	v_add_nc_u32_e32 v56, 0x9c4, v52
	v_add_co_u32 v6, vcc_lo, v0, v6
	v_add_co_ci_u32_e32 v7, vcc_lo, v1, v7, vcc_lo
	v_add_co_u32 v12, vcc_lo, v0, v12
	v_lshlrev_b64 v[14:15], 3, v[56:57]
	v_add_nc_u32_e32 v56, 0xa41, v52
	v_add_co_ci_u32_e32 v13, vcc_lo, v1, v13, vcc_lo
	global_store_dwordx2 v[10:11], v[8:9], off
	s_waitcnt lgkmcnt(0)
	global_store_dwordx2 v[6:7], v[2:3], off
	global_store_dwordx2 v[12:13], v[4:5], off
	v_lshlrev_b64 v[10:11], 3, v[56:57]
	v_add_nc_u32_e32 v56, 0xabe, v52
	v_add_nc_u32_e32 v16, 0x4c00, v24
	;; [unrolled: 1-line block ×3, first 2 shown]
	v_add_co_u32 v14, vcc_lo, v0, v14
	v_lshlrev_b64 v[12:13], 3, v[56:57]
	v_add_nc_u32_e32 v56, 0xb3b, v52
	v_add_co_ci_u32_e32 v15, vcc_lo, v1, v15, vcc_lo
	ds_read2_b64 v[2:5], v16 offset0:68 offset1:193
	v_add_co_u32 v16, vcc_lo, v0, v10
	ds_read2_b64 v[6:9], v6 offset0:62 offset1:187
	v_add_co_ci_u32_e32 v17, vcc_lo, v1, v11, vcc_lo
	v_lshlrev_b64 v[10:11], 3, v[56:57]
	v_add_co_u32 v18, vcc_lo, v0, v12
	v_add_nc_u32_e32 v12, 0x5c00, v24
	v_add_co_ci_u32_e32 v19, vcc_lo, v1, v13, vcc_lo
	v_add_co_u32 v20, vcc_lo, v0, v10
	v_add_nc_u32_e32 v56, 0xbb8, v52
	v_add_co_ci_u32_e32 v21, vcc_lo, v1, v11, vcc_lo
	ds_read2_b64 v[10:13], v12 offset0:56 offset1:181
	s_waitcnt lgkmcnt(2)
	global_store_dwordx2 v[14:15], v[2:3], off
	global_store_dwordx2 v[16:17], v[4:5], off
	s_waitcnt lgkmcnt(1)
	global_store_dwordx2 v[18:19], v[6:7], off
	global_store_dwordx2 v[20:21], v[8:9], off
	v_lshlrev_b64 v[22:23], 3, v[56:57]
	v_add_nc_u32_e32 v56, 0xc35, v52
	v_add_nc_u32_e32 v6, 0x6400, v24
	;; [unrolled: 1-line block ×3, first 2 shown]
	v_lshlrev_b64 v[2:3], 3, v[56:57]
	v_add_nc_u32_e32 v56, 0xcb2, v52
	v_add_co_u32 v4, vcc_lo, v0, v22
	v_add_co_ci_u32_e32 v5, vcc_lo, v1, v23, vcc_lo
	v_lshlrev_b64 v[14:15], 3, v[56:57]
	v_add_nc_u32_e32 v56, 0xd2f, v52
	v_add_co_u32 v2, vcc_lo, v0, v2
	v_add_co_ci_u32_e32 v3, vcc_lo, v1, v3, vcc_lo
	s_waitcnt lgkmcnt(0)
	global_store_dwordx2 v[4:5], v[10:11], off
	v_lshlrev_b64 v[10:11], 3, v[56:57]
	v_add_nc_u32_e32 v56, 0xdac, v52
	global_store_dwordx2 v[2:3], v[12:13], off
	v_add_co_u32 v12, vcc_lo, v0, v14
	ds_read2_b64 v[2:5], v6 offset0:50 offset1:175
	v_add_co_ci_u32_e32 v13, vcc_lo, v1, v15, vcc_lo
	v_lshlrev_b64 v[14:15], 3, v[56:57]
	v_add_nc_u32_e32 v56, 0xe29, v52
	ds_read2_b64 v[6:9], v7 offset0:44 offset1:169
	v_add_co_u32 v10, vcc_lo, v0, v10
	v_add_co_ci_u32_e32 v11, vcc_lo, v1, v11, vcc_lo
	v_lshlrev_b64 v[16:17], 3, v[56:57]
	v_add_co_u32 v14, vcc_lo, v0, v14
	v_add_co_ci_u32_e32 v15, vcc_lo, v1, v15, vcc_lo
	v_add_co_u32 v16, vcc_lo, v0, v16
	v_add_co_ci_u32_e32 v17, vcc_lo, v1, v17, vcc_lo
	v_cmp_eq_u32_e32 vcc_lo, 0x7c, v52
	s_waitcnt lgkmcnt(1)
	global_store_dwordx2 v[12:13], v[2:3], off
	global_store_dwordx2 v[10:11], v[4:5], off
	s_waitcnt lgkmcnt(0)
	global_store_dwordx2 v[14:15], v[6:7], off
	global_store_dwordx2 v[16:17], v[8:9], off
	s_and_b32 exec_lo, exec_lo, vcc_lo
	s_cbranch_execz .LBB0_20
; %bb.19:
	v_mov_b32_e32 v2, 0
	v_add_co_u32 v0, vcc_lo, 0x7000, v0
	v_add_co_ci_u32_e32 v1, vcc_lo, 0, v1, vcc_lo
	ds_read_b64 v[2:3], v2 offset:30000
	s_waitcnt lgkmcnt(0)
	global_store_dwordx2 v[0:1], v[2:3], off offset:1328
.LBB0_20:
	s_endpgm
	.section	.rodata,"a",@progbits
	.p2align	6, 0x0
	.amdhsa_kernel fft_rtc_fwd_len3750_factors_3_5_5_10_5_wgs_125_tpt_125_halfLds_sp_op_CI_CI_unitstride_sbrr_R2C_dirReg
		.amdhsa_group_segment_fixed_size 0
		.amdhsa_private_segment_fixed_size 0
		.amdhsa_kernarg_size 104
		.amdhsa_user_sgpr_count 6
		.amdhsa_user_sgpr_private_segment_buffer 1
		.amdhsa_user_sgpr_dispatch_ptr 0
		.amdhsa_user_sgpr_queue_ptr 0
		.amdhsa_user_sgpr_kernarg_segment_ptr 1
		.amdhsa_user_sgpr_dispatch_id 0
		.amdhsa_user_sgpr_flat_scratch_init 0
		.amdhsa_user_sgpr_private_segment_size 0
		.amdhsa_wavefront_size32 1
		.amdhsa_uses_dynamic_stack 0
		.amdhsa_system_sgpr_private_segment_wavefront_offset 0
		.amdhsa_system_sgpr_workgroup_id_x 1
		.amdhsa_system_sgpr_workgroup_id_y 0
		.amdhsa_system_sgpr_workgroup_id_z 0
		.amdhsa_system_sgpr_workgroup_info 0
		.amdhsa_system_vgpr_workitem_id 0
		.amdhsa_next_free_vgpr 150
		.amdhsa_next_free_sgpr 27
		.amdhsa_reserve_vcc 1
		.amdhsa_reserve_flat_scratch 0
		.amdhsa_float_round_mode_32 0
		.amdhsa_float_round_mode_16_64 0
		.amdhsa_float_denorm_mode_32 3
		.amdhsa_float_denorm_mode_16_64 3
		.amdhsa_dx10_clamp 1
		.amdhsa_ieee_mode 1
		.amdhsa_fp16_overflow 0
		.amdhsa_workgroup_processor_mode 1
		.amdhsa_memory_ordered 1
		.amdhsa_forward_progress 0
		.amdhsa_shared_vgpr_count 0
		.amdhsa_exception_fp_ieee_invalid_op 0
		.amdhsa_exception_fp_denorm_src 0
		.amdhsa_exception_fp_ieee_div_zero 0
		.amdhsa_exception_fp_ieee_overflow 0
		.amdhsa_exception_fp_ieee_underflow 0
		.amdhsa_exception_fp_ieee_inexact 0
		.amdhsa_exception_int_div_zero 0
	.end_amdhsa_kernel
	.text
.Lfunc_end0:
	.size	fft_rtc_fwd_len3750_factors_3_5_5_10_5_wgs_125_tpt_125_halfLds_sp_op_CI_CI_unitstride_sbrr_R2C_dirReg, .Lfunc_end0-fft_rtc_fwd_len3750_factors_3_5_5_10_5_wgs_125_tpt_125_halfLds_sp_op_CI_CI_unitstride_sbrr_R2C_dirReg
                                        ; -- End function
	.section	.AMDGPU.csdata,"",@progbits
; Kernel info:
; codeLenInByte = 22320
; NumSgprs: 29
; NumVgprs: 150
; ScratchSize: 0
; MemoryBound: 0
; FloatMode: 240
; IeeeMode: 1
; LDSByteSize: 0 bytes/workgroup (compile time only)
; SGPRBlocks: 3
; VGPRBlocks: 18
; NumSGPRsForWavesPerEU: 29
; NumVGPRsForWavesPerEU: 150
; Occupancy: 6
; WaveLimiterHint : 1
; COMPUTE_PGM_RSRC2:SCRATCH_EN: 0
; COMPUTE_PGM_RSRC2:USER_SGPR: 6
; COMPUTE_PGM_RSRC2:TRAP_HANDLER: 0
; COMPUTE_PGM_RSRC2:TGID_X_EN: 1
; COMPUTE_PGM_RSRC2:TGID_Y_EN: 0
; COMPUTE_PGM_RSRC2:TGID_Z_EN: 0
; COMPUTE_PGM_RSRC2:TIDIG_COMP_CNT: 0
	.text
	.p2alignl 6, 3214868480
	.fill 48, 4, 3214868480
	.type	__hip_cuid_774591ccdc2243de,@object ; @__hip_cuid_774591ccdc2243de
	.section	.bss,"aw",@nobits
	.globl	__hip_cuid_774591ccdc2243de
__hip_cuid_774591ccdc2243de:
	.byte	0                               ; 0x0
	.size	__hip_cuid_774591ccdc2243de, 1

	.ident	"AMD clang version 19.0.0git (https://github.com/RadeonOpenCompute/llvm-project roc-6.4.0 25133 c7fe45cf4b819c5991fe208aaa96edf142730f1d)"
	.section	".note.GNU-stack","",@progbits
	.addrsig
	.addrsig_sym __hip_cuid_774591ccdc2243de
	.amdgpu_metadata
---
amdhsa.kernels:
  - .args:
      - .actual_access:  read_only
        .address_space:  global
        .offset:         0
        .size:           8
        .value_kind:     global_buffer
      - .offset:         8
        .size:           8
        .value_kind:     by_value
      - .actual_access:  read_only
        .address_space:  global
        .offset:         16
        .size:           8
        .value_kind:     global_buffer
      - .actual_access:  read_only
        .address_space:  global
        .offset:         24
        .size:           8
        .value_kind:     global_buffer
      - .actual_access:  read_only
        .address_space:  global
        .offset:         32
        .size:           8
        .value_kind:     global_buffer
      - .offset:         40
        .size:           8
        .value_kind:     by_value
      - .actual_access:  read_only
        .address_space:  global
        .offset:         48
        .size:           8
        .value_kind:     global_buffer
      - .actual_access:  read_only
        .address_space:  global
        .offset:         56
        .size:           8
        .value_kind:     global_buffer
      - .offset:         64
        .size:           4
        .value_kind:     by_value
      - .actual_access:  read_only
        .address_space:  global
        .offset:         72
        .size:           8
        .value_kind:     global_buffer
      - .actual_access:  read_only
        .address_space:  global
        .offset:         80
        .size:           8
        .value_kind:     global_buffer
      - .actual_access:  read_only
        .address_space:  global
        .offset:         88
        .size:           8
        .value_kind:     global_buffer
      - .actual_access:  write_only
        .address_space:  global
        .offset:         96
        .size:           8
        .value_kind:     global_buffer
    .group_segment_fixed_size: 0
    .kernarg_segment_align: 8
    .kernarg_segment_size: 104
    .language:       OpenCL C
    .language_version:
      - 2
      - 0
    .max_flat_workgroup_size: 125
    .name:           fft_rtc_fwd_len3750_factors_3_5_5_10_5_wgs_125_tpt_125_halfLds_sp_op_CI_CI_unitstride_sbrr_R2C_dirReg
    .private_segment_fixed_size: 0
    .sgpr_count:     29
    .sgpr_spill_count: 0
    .symbol:         fft_rtc_fwd_len3750_factors_3_5_5_10_5_wgs_125_tpt_125_halfLds_sp_op_CI_CI_unitstride_sbrr_R2C_dirReg.kd
    .uniform_work_group_size: 1
    .uses_dynamic_stack: false
    .vgpr_count:     150
    .vgpr_spill_count: 0
    .wavefront_size: 32
    .workgroup_processor_mode: 1
amdhsa.target:   amdgcn-amd-amdhsa--gfx1030
amdhsa.version:
  - 1
  - 2
...

	.end_amdgpu_metadata
